;; amdgpu-corpus repo=ROCm/rocFFT kind=compiled arch=gfx950 opt=O3
	.text
	.amdgcn_target "amdgcn-amd-amdhsa--gfx950"
	.amdhsa_code_object_version 6
	.protected	bluestein_single_back_len1848_dim1_dp_op_CI_CI ; -- Begin function bluestein_single_back_len1848_dim1_dp_op_CI_CI
	.globl	bluestein_single_back_len1848_dim1_dp_op_CI_CI
	.p2align	8
	.type	bluestein_single_back_len1848_dim1_dp_op_CI_CI,@function
bluestein_single_back_len1848_dim1_dp_op_CI_CI: ; @bluestein_single_back_len1848_dim1_dp_op_CI_CI
; %bb.0:
	s_load_dwordx4 s[8:11], s[0:1], 0x28
	v_mul_u32_u24_e32 v1, 0x11c, v0
	v_mov_b32_e32 v49, 0
	v_add_u32_sdwa v6, s2, v1 dst_sel:DWORD dst_unused:UNUSED_PAD src0_sel:DWORD src1_sel:WORD_1
	v_mov_b32_e32 v7, v49
	s_waitcnt lgkmcnt(0)
	v_cmp_gt_u64_e32 vcc, s[8:9], v[6:7]
	s_and_saveexec_b64 s[2:3], vcc
	s_cbranch_execz .LBB0_31
; %bb.1:
	s_load_dwordx4 s[4:7], s[0:1], 0x18
	s_load_dwordx2 s[14:15], s[0:1], 0x0
	v_mov_b32_e32 v2, s10
	v_mov_b32_e32 v3, s11
	s_movk_i32 s2, 0xe7
	s_waitcnt lgkmcnt(0)
	s_load_dwordx4 s[8:11], s[4:5], 0x0
	v_mul_lo_u16_sdwa v1, v1, s2 dst_sel:DWORD dst_unused:UNUSED_PAD src0_sel:WORD_1 src1_sel:DWORD
	v_sub_u16_e32 v48, v0, v1
	v_accvgpr_write_b32 a16, v6
	v_lshlrev_b32_e32 v204, 4, v48
	s_waitcnt lgkmcnt(0)
	v_mad_u64_u32 v[0:1], s[2:3], s10, v6, 0
	v_mov_b32_e32 v4, v1
	v_mad_u64_u32 v[4:5], s[2:3], s11, v6, v[4:5]
	v_mov_b32_e32 v1, v4
	v_mad_u64_u32 v[4:5], s[2:3], s8, v48, 0
	v_mov_b32_e32 v6, v5
	v_mad_u64_u32 v[6:7], s[2:3], s9, v48, v[6:7]
	s_mul_i32 s2, s9, 0x268
	s_mul_hi_u32 s3, s8, 0x268
	v_mov_b32_e32 v5, v6
	v_lshl_add_u64 v[0:1], v[0:1], 4, v[2:3]
	v_mov_b32_e32 v205, v49
	s_add_i32 s3, s3, s2
	s_mul_i32 s2, s8, 0x268
	v_lshl_add_u64 v[0:1], v[4:5], 4, v[0:1]
	v_lshl_add_u64 v[26:27], s[14:15], 0, v[204:205]
	s_lshl_b64 s[2:3], s[2:3], 4
	s_movk_i32 s4, 0x2000
	v_lshl_add_u64 v[2:3], v[0:1], 0, s[2:3]
	global_load_dwordx4 v[4:7], v[0:1], off
	global_load_dwordx4 v[8:11], v[2:3], off
	v_add_co_u32_e32 v0, vcc, s4, v26
	s_movk_i32 s4, 0x4000
	s_nop 0
	v_addc_co_u32_e32 v1, vcc, 0, v27, vcc
	s_mul_hi_u32 s5, s8, 0xfffffc17
	global_load_dwordx4 v[32:35], v[0:1], off offset:1664
	v_add_co_u32_e32 v0, vcc, s4, v26
	s_mul_i32 s4, s9, 0xfffffc17
	s_sub_i32 s5, s5, s8
	v_lshl_add_u64 v[2:3], v[2:3], 0, s[2:3]
	v_addc_co_u32_e32 v1, vcc, 0, v27, vcc
	s_add_i32 s5, s5, s4
	s_mul_i32 s4, s8, 0xfffffc17
	global_load_dwordx4 v[12:15], v[2:3], off
	global_load_dwordx4 v[36:39], v[0:1], off offset:3328
	global_load_dwordx4 v[54:57], v204, s[14:15]
	v_lshl_add_u64 v[2:3], s[4:5], 4, v[2:3]
	s_movk_i32 s8, 0x3000
	global_load_dwordx4 v[40:43], v204, s[14:15] offset:3696
	v_lshl_add_u64 v[24:25], v[2:3], 0, s[2:3]
	global_load_dwordx4 v[16:19], v[2:3], off
	global_load_dwordx4 v[20:23], v[24:25], off
	v_add_co_u32_e32 v2, vcc, s8, v26
	s_movk_i32 s8, 0x5000
	s_nop 0
	v_addc_co_u32_e32 v3, vcc, 0, v27, vcc
	v_add_co_u32_e32 v28, vcc, s8, v26
	v_accvgpr_write_b32 a0, v26
	s_nop 0
	v_addc_co_u32_e32 v29, vcc, 0, v27, vcc
	global_load_dwordx4 v[44:47], v[2:3], off offset:1264
	v_lshl_add_u64 v[2:3], v[24:25], 0, s[2:3]
	v_accvgpr_write_b32 a1, v27
	global_load_dwordx4 v[50:53], v[28:29], off offset:2928
	global_load_dwordx4 v[24:27], v[2:3], off
	s_load_dwordx2 s[12:13], s[0:1], 0x38
	s_load_dwordx4 s[8:11], s[6:7], 0x0
	s_movk_i32 s6, 0x9a
	v_cmp_gt_u16_e64 s[6:7], s6, v48
	s_waitcnt vmcnt(9)
	v_accvgpr_write_b32 a4, v32
	v_accvgpr_write_b32 a5, v33
	;; [unrolled: 1-line block ×4, first 2 shown]
	s_waitcnt vmcnt(7)
	v_accvgpr_write_b32 a8, v36
	s_waitcnt vmcnt(6)
	v_mul_f64 v[28:29], v[6:7], v[56:57]
	v_mul_f64 v[30:31], v[4:5], v[56:57]
	v_fmac_f64_e32 v[28:29], v[4:5], v[54:55]
	v_fma_f64 v[30:31], v[6:7], v[54:55], -v[30:31]
	v_mul_f64 v[4:5], v[10:11], v[34:35]
	v_mul_f64 v[6:7], v[8:9], v[34:35]
	v_fmac_f64_e32 v[4:5], v[8:9], v[32:33]
	v_fma_f64 v[6:7], v[10:11], v[32:33], -v[6:7]
	v_mul_f64 v[8:9], v[14:15], v[38:39]
	v_mul_f64 v[10:11], v[12:13], v[38:39]
	ds_write_b128 v204, v[4:7] offset:9856
	s_waitcnt vmcnt(4)
	v_mul_f64 v[4:5], v[18:19], v[42:43]
	v_mul_f64 v[6:7], v[16:17], v[42:43]
	v_fmac_f64_e32 v[8:9], v[12:13], v[36:37]
	v_fma_f64 v[10:11], v[14:15], v[36:37], -v[10:11]
	v_fmac_f64_e32 v[4:5], v[16:17], v[40:41]
	v_fma_f64 v[6:7], v[18:19], v[40:41], -v[6:7]
	v_accvgpr_write_b32 a26, v54
	ds_write_b128 v204, v[8:11] offset:19712
	v_accvgpr_write_b32 a12, v40
	s_waitcnt vmcnt(2)
	v_mul_f64 v[8:9], v[22:23], v[46:47]
	v_mul_f64 v[10:11], v[20:21], v[46:47]
	ds_write_b128 v204, v[4:7] offset:3696
	v_accvgpr_write_b32 a18, v44
	s_waitcnt vmcnt(0)
	v_mul_f64 v[4:5], v[26:27], v[52:53]
	v_mul_f64 v[6:7], v[24:25], v[52:53]
	v_accvgpr_write_b32 a22, v50
	v_accvgpr_write_b32 a27, v55
	;; [unrolled: 1-line block ×10, first 2 shown]
	v_fmac_f64_e32 v[8:9], v[20:21], v[44:45]
	v_accvgpr_write_b32 a19, v45
	v_accvgpr_write_b32 a20, v46
	;; [unrolled: 1-line block ×3, first 2 shown]
	v_fma_f64 v[10:11], v[22:23], v[44:45], -v[10:11]
	v_fmac_f64_e32 v[4:5], v[24:25], v[50:51]
	v_accvgpr_write_b32 a23, v51
	v_accvgpr_write_b32 a24, v52
	;; [unrolled: 1-line block ×3, first 2 shown]
	v_fma_f64 v[6:7], v[26:27], v[50:51], -v[6:7]
	ds_write_b128 v204, v[28:31]
	ds_write_b128 v204, v[8:11] offset:13552
	ds_write_b128 v204, v[4:7] offset:23408
	s_and_saveexec_b64 s[16:17], s[6:7]
	s_cbranch_execz .LBB0_3
; %bb.2:
	v_accvgpr_read_b32 v21, a1
	v_accvgpr_read_b32 v20, a0
	v_lshl_add_u64 v[10:11], s[4:5], 4, v[2:3]
	v_add_co_u32_e32 v6, vcc, 0x1000, v20
	v_lshl_add_u64 v[18:19], v[10:11], 0, s[2:3]
	s_nop 0
	v_addc_co_u32_e32 v7, vcc, 0, v21, vcc
	global_load_dwordx4 v[2:5], v[10:11], off
	s_nop 0
	global_load_dwordx4 v[6:9], v[6:7], off offset:3296
	s_nop 0
	global_load_dwordx4 v[10:13], v[18:19], off
	global_load_dwordx4 v[14:17], v[0:1], off offset:864
	v_lshl_add_u64 v[0:1], v[18:19], 0, s[2:3]
	s_movk_i32 s2, 0x6000
	v_add_co_u32_e32 v26, vcc, s2, v20
	s_nop 1
	v_addc_co_u32_e32 v27, vcc, 0, v21, vcc
	global_load_dwordx4 v[18:21], v[26:27], off offset:2528
	global_load_dwordx4 v[22:25], v[0:1], off
	s_waitcnt vmcnt(4)
	v_mul_f64 v[0:1], v[4:5], v[8:9]
	v_mul_f64 v[26:27], v[2:3], v[8:9]
	v_fmac_f64_e32 v[0:1], v[2:3], v[6:7]
	v_fma_f64 v[2:3], v[4:5], v[6:7], -v[26:27]
	s_waitcnt vmcnt(2)
	v_mul_f64 v[8:9], v[12:13], v[16:17]
	v_mul_f64 v[16:17], v[10:11], v[16:17]
	v_fmac_f64_e32 v[8:9], v[10:11], v[14:15]
	v_fma_f64 v[10:11], v[12:13], v[14:15], -v[16:17]
	ds_write_b128 v204, v[0:3] offset:7392
	ds_write_b128 v204, v[8:11] offset:17248
	s_waitcnt vmcnt(0)
	v_mul_f64 v[4:5], v[24:25], v[20:21]
	v_mul_f64 v[6:7], v[22:23], v[20:21]
	v_fmac_f64_e32 v[4:5], v[22:23], v[18:19]
	v_fma_f64 v[6:7], v[24:25], v[18:19], -v[6:7]
	ds_write_b128 v204, v[4:7] offset:27104
.LBB0_3:
	s_or_b64 exec, exec, s[16:17]
	s_waitcnt lgkmcnt(0)
	s_barrier
	ds_read_b128 v[68:71], v204
	ds_read_b128 v[72:75], v204 offset:3696
	ds_read_b128 v[40:43], v204 offset:9856
	;; [unrolled: 1-line block ×5, first 2 shown]
                                        ; implicit-def: $vgpr24_vgpr25
                                        ; implicit-def: $vgpr36_vgpr37
                                        ; implicit-def: $vgpr76_vgpr77
	s_and_saveexec_b64 s[2:3], s[6:7]
	s_cbranch_execz .LBB0_5
; %bb.4:
	ds_read_b128 v[76:79], v204 offset:7392
	ds_read_b128 v[24:27], v204 offset:17248
	;; [unrolled: 1-line block ×3, first 2 shown]
.LBB0_5:
	s_or_b64 exec, exec, s[2:3]
	s_mov_b64 s[2:3], 0xe7
	v_lshl_add_u64 v[168:169], v[48:49], 0, s[2:3]
	s_mov_b64 s[2:3], 0x1ce
	s_waitcnt lgkmcnt(3)
	v_add_f64 v[2:3], v[68:69], v[40:41]
	v_lshl_add_u64 v[0:1], v[48:49], 0, s[2:3]
	s_waitcnt lgkmcnt(1)
	v_add_f64 v[64:65], v[2:3], v[44:45]
	v_add_f64 v[2:3], v[40:41], v[44:45]
	s_mov_b32 s2, 0xe8584caa
	v_fmac_f64_e32 v[68:69], -0.5, v[2:3]
	v_add_f64 v[2:3], v[42:43], -v[46:47]
	s_mov_b32 s3, 0x3febb67a
	s_mov_b32 s5, 0xbfebb67a
	;; [unrolled: 1-line block ×3, first 2 shown]
	v_fma_f64 v[80:81], s[2:3], v[2:3], v[68:69]
	v_fmac_f64_e32 v[68:69], s[4:5], v[2:3]
	v_add_f64 v[2:3], v[70:71], v[42:43]
	v_add_f64 v[66:67], v[2:3], v[46:47]
	;; [unrolled: 1-line block ×3, first 2 shown]
	v_fmac_f64_e32 v[70:71], -0.5, v[2:3]
	v_add_f64 v[2:3], v[40:41], -v[44:45]
	v_fma_f64 v[82:83], s[4:5], v[2:3], v[70:71]
	v_fmac_f64_e32 v[70:71], s[2:3], v[2:3]
	v_add_f64 v[2:3], v[72:73], v[28:29]
	s_waitcnt lgkmcnt(0)
	v_add_f64 v[84:85], v[2:3], v[32:33]
	v_add_f64 v[2:3], v[28:29], v[32:33]
	v_fmac_f64_e32 v[72:73], -0.5, v[2:3]
	v_add_f64 v[2:3], v[30:31], -v[34:35]
	v_fma_f64 v[88:89], s[2:3], v[2:3], v[72:73]
	v_fmac_f64_e32 v[72:73], s[4:5], v[2:3]
	v_add_f64 v[2:3], v[74:75], v[30:31]
	v_add_f64 v[86:87], v[2:3], v[34:35]
	;; [unrolled: 1-line block ×3, first 2 shown]
	v_fmac_f64_e32 v[74:75], -0.5, v[2:3]
	v_add_f64 v[2:3], v[28:29], -v[32:33]
	v_fma_f64 v[90:91], s[4:5], v[2:3], v[74:75]
	v_fmac_f64_e32 v[74:75], s[2:3], v[2:3]
	v_add_f64 v[2:3], v[24:25], v[76:77]
	v_add_f64 v[92:93], v[36:37], v[2:3]
	;; [unrolled: 1-line block ×3, first 2 shown]
	s_load_dwordx2 s[0:1], s[0:1], 0x8
	v_fmac_f64_e32 v[76:77], -0.5, v[2:3]
	v_add_f64 v[2:3], v[26:27], -v[38:39]
	v_fma_f64 v[96:97], s[2:3], v[2:3], v[76:77]
	v_fmac_f64_e32 v[76:77], s[4:5], v[2:3]
	v_add_f64 v[2:3], v[26:27], v[78:79]
	v_add_f64 v[94:95], v[38:39], v[2:3]
	v_add_f64 v[2:3], v[26:27], v[38:39]
	v_fmac_f64_e32 v[78:79], -0.5, v[2:3]
	v_add_f64 v[2:3], v[24:25], -v[36:37]
	v_mul_u32_u24_e32 v232, 3, v48
	v_mul_u32_u24_e32 v1, 3, v168
	v_fma_f64 v[98:99], s[4:5], v[2:3], v[78:79]
	v_fmac_f64_e32 v[78:79], s[2:3], v[2:3]
	v_lshlrev_b32_e32 v206, 4, v232
	v_lshlrev_b32_e32 v207, 4, v1
	v_mul_u32_u24_e32 v210, 3, v0
	s_waitcnt lgkmcnt(0)
	s_barrier
	ds_write_b128 v206, v[64:67]
	ds_write_b128 v206, v[80:83] offset:16
	ds_write_b128 v206, v[68:71] offset:32
	ds_write_b128 v207, v[84:87]
	ds_write_b128 v207, v[88:91] offset:16
	ds_write_b128 v207, v[72:75] offset:32
	s_and_saveexec_b64 s[2:3], s[6:7]
	s_cbranch_execz .LBB0_7
; %bb.6:
	v_lshlrev_b32_e32 v0, 4, v210
	ds_write_b128 v0, v[92:95]
	ds_write_b128 v0, v[96:99] offset:16
	ds_write_b128 v0, v[76:79] offset:32
.LBB0_7:
	s_or_b64 exec, exec, s[2:3]
	s_movk_i32 s2, 0xa8
	v_cmp_gt_u16_e64 s[2:3], s2, v48
	s_waitcnt lgkmcnt(0)
	s_barrier
	s_waitcnt lgkmcnt(0)
                                        ; implicit-def: $vgpr100_vgpr101
                                        ; implicit-def: $vgpr104_vgpr105
	s_and_saveexec_b64 s[4:5], s[2:3]
	s_cbranch_execz .LBB0_9
; %bb.8:
	ds_read_b128 v[64:67], v204
	ds_read_b128 v[80:83], v204 offset:2688
	ds_read_b128 v[68:71], v204 offset:5376
	;; [unrolled: 1-line block ×10, first 2 shown]
.LBB0_9:
	s_or_b64 exec, exec, s[4:5]
	s_movk_i32 s4, 0xab
	v_mul_lo_u16_sdwa v0, v48, s4 dst_sel:DWORD dst_unused:UNUSED_PAD src0_sel:BYTE_0 src1_sel:DWORD
	v_lshrrev_b16_e32 v170, 9, v0
	v_mul_lo_u16_e32 v0, 3, v170
	v_sub_u16_e32 v0, v48, v0
	v_and_b32_e32 v0, 0xff, v0
	v_accvgpr_write_b32 a3, v0
	v_mul_u32_u24_e32 v0, 10, v0
	v_lshlrev_b32_e32 v0, 4, v0
	v_accvgpr_write_b32 a2, v48
	global_load_dwordx4 v[36:39], v0, s[0:1]
	global_load_dwordx4 v[32:35], v0, s[0:1] offset:16
	global_load_dwordx4 v[28:31], v0, s[0:1] offset:32
	;; [unrolled: 1-line block ×9, first 2 shown]
	s_mov_b32 s18, 0xf8bb580b
	s_mov_b32 s4, 0x8764f0ba
	s_mov_b32 s19, 0xbfe14ced
	s_mov_b32 s20, 0x8eee2c13
	s_mov_b32 s5, 0x3feaeb8c
	s_mov_b32 s16, 0xd9c712b6
	s_mov_b32 s21, 0xbfed1bb4
	s_mov_b32 s24, 0x43842ef
	s_mov_b32 s17, 0x3fda9628
	s_mov_b32 s22, 0x640f44db
	s_mov_b32 s25, 0xbfefac9e
	s_mov_b32 s30, 0xbb3a28a1
	s_mov_b32 s23, 0xbfc2375f
	s_mov_b32 s28, 0x7f775887
	s_mov_b32 s31, 0xbfe82f19
	s_mov_b32 s29, 0xbfe4f49e
	s_mov_b32 s38, 0xfd768dbf
	s_mov_b32 s34, 0x9bcd5057
	s_mov_b32 s39, 0x3fd207e7
	s_mov_b32 s37, 0xbfd207e7
	s_mov_b32 s36, s38
	s_mov_b32 s35, 0xbfeeb42a
	s_mov_b32 s45, 0x3fefac9e
	s_mov_b32 s44, s24
	s_mov_b32 s41, 0x3fe14ced
	s_mov_b32 s40, s18
	s_mov_b32 s43, 0x3fed1bb4
	s_mov_b32 s42, s20
	s_waitcnt lgkmcnt(0)
	s_barrier
	s_waitcnt vmcnt(9)
	v_mul_f64 v[0:1], v[82:83], v[38:39]
	v_mul_f64 v[108:109], v[80:81], v[38:39]
	s_waitcnt vmcnt(7)
	v_mul_f64 v[128:129], v[84:85], v[30:31]
	v_mul_f64 v[2:3], v[70:71], v[34:35]
	;; [unrolled: 1-line block ×4, first 2 shown]
	v_fma_f64 v[80:81], v[80:81], v[36:37], -v[0:1]
	s_waitcnt vmcnt(2)
	v_mul_f64 v[138:139], v[76:77], v[42:43]
	s_waitcnt vmcnt(1)
	v_mul_f64 v[16:17], v[102:103], v[62:63]
	;; [unrolled: 2-line block ×3, first 2 shown]
	v_mul_f64 v[142:143], v[104:105], v[58:59]
	v_mul_f64 v[140:141], v[100:101], v[62:63]
	v_fmac_f64_e32 v[108:109], v[82:83], v[36:37]
	v_fmac_f64_e32 v[128:129], v[86:87], v[28:29]
	v_fma_f64 v[86:87], v[104:105], v[56:57], -v[18:19]
	v_fmac_f64_e32 v[142:143], v[106:107], v[56:57]
	v_mul_f64 v[6:7], v[90:91], v[26:27]
	v_mul_f64 v[136:137], v[96:97], v[46:47]
	v_mul_f64 v[14:15], v[78:79], v[42:43]
	v_fma_f64 v[68:69], v[68:69], v[32:33], -v[2:3]
	v_fmac_f64_e32 v[110:111], v[70:71], v[32:33]
	v_fmac_f64_e32 v[138:139], v[78:79], v[40:41]
	v_fma_f64 v[78:79], v[100:101], v[60:61], -v[16:17]
	v_fmac_f64_e32 v[140:141], v[102:103], v[60:61]
	v_add_f64 v[144:145], v[108:109], -v[142:143]
	v_add_f64 v[102:103], v[80:81], -v[86:87]
	v_mul_f64 v[130:131], v[88:89], v[26:27]
	v_mul_f64 v[132:133], v[72:73], v[54:55]
	;; [unrolled: 1-line block ×5, first 2 shown]
	v_fma_f64 v[70:71], v[84:85], v[28:29], -v[4:5]
	v_fma_f64 v[82:83], v[88:89], v[24:25], -v[6:7]
	v_fmac_f64_e32 v[136:137], v[98:99], v[44:45]
	v_fma_f64 v[76:77], v[76:77], v[40:41], -v[14:15]
	v_add_f64 v[88:89], v[80:81], v[86:87]
	v_add_f64 v[146:147], v[110:111], -v[140:141]
	v_add_f64 v[150:151], v[108:109], v[142:143]
	v_add_f64 v[104:105], v[68:69], -v[78:79]
	v_mul_f64 v[234:235], v[144:145], s[18:19]
	v_mul_f64 v[98:99], v[102:103], s[18:19]
	;; [unrolled: 1-line block ×3, first 2 shown]
	v_fmac_f64_e32 v[130:131], v[90:91], v[24:25]
	v_fmac_f64_e32 v[132:133], v[74:75], v[52:53]
	v_fma_f64 v[74:75], v[92:93], v[48:49], -v[10:11]
	v_fmac_f64_e32 v[134:135], v[94:95], v[48:49]
	v_add_f64 v[92:93], v[68:69], v[78:79]
	v_add_f64 v[154:155], v[110:111], v[140:141]
	v_add_f64 v[176:177], v[128:129], -v[138:139]
	v_mul_f64 v[94:95], v[146:147], s[20:21]
	v_mul_f64 v[100:101], v[104:105], s[20:21]
	v_fma_f64 v[0:1], s[4:5], v[88:89], v[234:235]
	v_fma_f64 v[4:5], v[150:151], s[4:5], -v[98:99]
	v_add_f64 v[182:183], v[70:71], -v[76:77]
	v_fma_f64 v[84:85], v[96:97], v[44:45], -v[12:13]
	v_add_f64 v[156:157], v[70:71], v[76:77]
	v_add_f64 v[192:193], v[128:129], v[138:139]
	v_mul_f64 v[96:97], v[176:177], s[24:25]
	v_fma_f64 v[2:3], s[16:17], v[92:93], v[94:95]
	v_fma_f64 v[6:7], v[154:155], s[16:17], -v[100:101]
	v_add_f64 v[0:1], v[64:65], v[0:1]
	v_add_f64 v[4:5], v[66:67], v[4:5]
	v_mul_f64 v[106:107], v[182:183], s[24:25]
	v_add_f64 v[226:227], v[130:131], -v[136:137]
	v_fma_f64 v[72:73], v[72:73], v[52:53], -v[8:9]
	v_fma_f64 v[8:9], s[22:23], v[156:157], v[96:97]
	v_add_f64 v[0:1], v[2:3], v[0:1]
	v_add_f64 v[2:3], v[6:7], v[4:5]
	v_fma_f64 v[4:5], v[192:193], s[22:23], -v[106:107]
	v_add_f64 v[184:185], v[82:83], v[84:85]
	v_mul_f64 v[148:149], v[226:227], s[30:31]
	v_add_f64 v[212:213], v[82:83], -v[84:85]
	v_add_f64 v[0:1], v[8:9], v[0:1]
	v_add_f64 v[2:3], v[4:5], v[2:3]
	v_fma_f64 v[4:5], s[28:29], v[184:185], v[148:149]
	v_add_f64 v[196:197], v[130:131], v[136:137]
	v_mul_f64 v[152:153], v[212:213], s[30:31]
	v_add_f64 v[10:11], v[132:133], -v[134:135]
	v_add_f64 v[0:1], v[4:5], v[0:1]
	v_fma_f64 v[4:5], v[196:197], s[28:29], -v[152:153]
	v_add_f64 v[198:199], v[72:73], v[74:75]
	v_mul_f64 v[158:159], v[10:11], s[36:37]
	v_add_f64 v[4:5], v[4:5], v[2:3]
	v_fma_f64 v[2:3], s[34:35], v[198:199], v[158:159]
	v_add_f64 v[116:117], v[2:3], v[0:1]
	v_add_f64 v[2:3], v[72:73], -v[74:75]
	v_add_f64 v[202:203], v[132:133], v[134:135]
	v_mul_f64 v[160:161], v[2:3], s[36:37]
	v_fma_f64 v[0:1], v[202:203], s[34:35], -v[160:161]
	v_mul_f64 v[162:163], v[144:145], s[20:21]
	v_add_f64 v[118:119], v[0:1], v[4:5]
	v_fma_f64 v[0:1], s[16:17], v[88:89], v[162:163]
	v_mul_f64 v[164:165], v[146:147], s[30:31]
	v_add_f64 v[0:1], v[64:65], v[0:1]
	v_fma_f64 v[4:5], s[28:29], v[92:93], v[164:165]
	v_mul_f64 v[172:173], v[102:103], s[20:21]
	v_add_f64 v[0:1], v[4:5], v[0:1]
	v_fma_f64 v[4:5], v[150:151], s[16:17], -v[172:173]
	v_mul_f64 v[174:175], v[104:105], s[30:31]
	v_add_f64 v[4:5], v[66:67], v[4:5]
	v_fma_f64 v[6:7], v[154:155], s[28:29], -v[174:175]
	v_mul_f64 v[166:167], v[176:177], s[38:39]
	v_add_f64 v[4:5], v[6:7], v[4:5]
	v_fma_f64 v[6:7], s[34:35], v[156:157], v[166:167]
	v_mul_f64 v[180:181], v[182:183], s[38:39]
	v_add_f64 v[0:1], v[6:7], v[0:1]
	v_fma_f64 v[6:7], v[192:193], s[34:35], -v[180:181]
	v_mul_f64 v[178:179], v[226:227], s[44:45]
	v_add_f64 v[4:5], v[6:7], v[4:5]
	v_fma_f64 v[6:7], s[22:23], v[184:185], v[178:179]
	v_mul_f64 v[188:189], v[212:213], s[44:45]
	v_add_f64 v[0:1], v[6:7], v[0:1]
	v_fma_f64 v[6:7], v[196:197], s[22:23], -v[188:189]
	v_mul_f64 v[186:187], v[10:11], s[40:41]
	v_add_f64 v[4:5], v[6:7], v[4:5]
	v_fma_f64 v[6:7], s[4:5], v[198:199], v[186:187]
	v_mul_f64 v[190:191], v[2:3], s[40:41]
	v_add_f64 v[120:121], v[6:7], v[0:1]
	v_fma_f64 v[0:1], v[202:203], s[4:5], -v[190:191]
	v_mul_f64 v[194:195], v[144:145], s[24:25]
	v_add_f64 v[122:123], v[0:1], v[4:5]
	v_fma_f64 v[0:1], s[22:23], v[88:89], v[194:195]
	v_mul_f64 v[200:201], v[146:147], s[38:39]
	v_add_f64 v[0:1], v[64:65], v[0:1]
	v_fma_f64 v[4:5], s[34:35], v[92:93], v[200:201]
	v_mul_f64 v[216:217], v[102:103], s[24:25]
	v_add_f64 v[0:1], v[4:5], v[0:1]
	v_fma_f64 v[4:5], v[150:151], s[22:23], -v[216:217]
	v_mul_f64 v[218:219], v[104:105], s[38:39]
	v_add_f64 v[4:5], v[66:67], v[4:5]
	v_fma_f64 v[6:7], v[154:155], s[34:35], -v[218:219]
	v_mul_f64 v[214:215], v[176:177], s[42:43]
	v_add_f64 v[4:5], v[6:7], v[4:5]
	v_fma_f64 v[6:7], s[16:17], v[156:157], v[214:215]
	v_mul_f64 v[224:225], v[182:183], s[42:43]
	v_add_f64 v[0:1], v[6:7], v[0:1]
	v_fma_f64 v[6:7], v[192:193], s[16:17], -v[224:225]
	v_mul_f64 v[220:221], v[226:227], s[18:19]
	v_add_f64 v[4:5], v[6:7], v[4:5]
	v_fma_f64 v[6:7], s[4:5], v[184:185], v[220:221]
	;; [unrolled: 6-line block ×3, first 2 shown]
	v_add_f64 v[124:125], v[6:7], v[0:1]
	v_mul_f64 v[0:1], v[2:3], s[30:31]
	v_fma_f64 v[6:7], v[202:203], s[28:29], -v[0:1]
	v_add_f64 v[126:127], v[6:7], v[4:5]
	v_mul_f64 v[4:5], v[144:145], s[30:31]
	v_fma_f64 v[6:7], s[28:29], v[88:89], v[4:5]
	v_add_f64 v[8:9], v[64:65], v[6:7]
	v_mul_f64 v[6:7], v[146:147], s[44:45]
	v_fma_f64 v[12:13], s[22:23], v[92:93], v[6:7]
	v_add_f64 v[14:15], v[12:13], v[8:9]
	v_mul_f64 v[12:13], v[102:103], s[30:31]
	v_fma_f64 v[8:9], v[150:151], s[28:29], -v[12:13]
	v_mul_f64 v[16:17], v[104:105], s[44:45]
	v_add_f64 v[8:9], v[66:67], v[8:9]
	v_fma_f64 v[18:19], v[154:155], s[22:23], -v[16:17]
	v_add_f64 v[18:19], v[18:19], v[8:9]
	v_mul_f64 v[8:9], v[176:177], s[18:19]
	v_fma_f64 v[20:21], s[4:5], v[156:157], v[8:9]
	v_add_f64 v[22:23], v[20:21], v[14:15]
	v_mul_f64 v[20:21], v[182:183], s[18:19]
	v_fma_f64 v[14:15], v[192:193], s[4:5], -v[20:21]
	v_add_f64 v[18:19], v[14:15], v[18:19]
	v_mul_f64 v[14:15], v[226:227], s[36:37]
	v_fma_f64 v[112:113], s[34:35], v[184:185], v[14:15]
	v_add_f64 v[112:113], v[112:113], v[22:23]
	v_mul_f64 v[22:23], v[212:213], s[36:37]
	;; [unrolled: 6-line block ×3, first 2 shown]
	v_fma_f64 v[230:231], v[202:203], s[16:17], -v[208:209]
	v_mul_u32_u24_e32 v90, 33, v170
	v_add_f64 v[114:115], v[230:231], v[114:115]
	v_accvgpr_write_b32 a31, v90
	s_and_saveexec_b64 s[26:27], s[2:3]
	s_cbranch_execz .LBB0_11
; %bb.10:
	v_mul_f64 v[90:91], v[88:89], s[4:5]
	v_accvgpr_write_b32 a36, v90
	v_accvgpr_write_b32 a37, v91
	v_mul_f64 v[90:91], v[150:151], s[4:5]
	v_accvgpr_write_b32 a40, v90
	v_accvgpr_write_b32 a41, v91
	;; [unrolled: 3-line block ×12, first 2 shown]
	v_mul_f64 v[90:91], v[156:157], s[34:35]
	v_accvgpr_write_b32 a58, v90
	v_mul_f64 v[244:245], v[150:151], s[22:23]
	v_mul_f64 v[248:249], v[150:151], s[28:29]
	v_accvgpr_write_b32 a42, v234
	v_accvgpr_write_b32 a59, v91
	v_mul_f64 v[90:91], v[192:193], s[34:35]
	v_mul_f64 v[150:151], v[150:151], s[34:35]
	v_mov_b32_e32 v205, v206
	v_accvgpr_write_b32 a17, v207
	v_mul_f64 v[206:207], v[154:155], s[34:35]
	v_accvgpr_write_b32 a43, v235
	v_mul_f64 v[234:235], v[154:155], s[22:23]
	;; [unrolled: 2-line block ×3, first 2 shown]
	v_mul_f64 v[154:155], v[154:155], s[4:5]
	v_fma_f64 v[250:251], s[38:39], v[102:103], v[150:151]
	v_accvgpr_write_b32 a65, v91
	v_mul_f64 v[238:239], v[192:193], s[16:17]
	v_mul_f64 v[90:91], v[192:193], s[4:5]
	v_accvgpr_write_b32 a32, v232
	v_fma_f64 v[232:233], s[20:21], v[212:213], v[236:237]
	v_mul_f64 v[192:193], v[192:193], s[28:29]
	s_mov_b32 s21, 0x3fe82f19
	s_mov_b32 s20, s30
	v_accvgpr_write_b32 a30, v210
	v_fma_f64 v[210:211], s[18:19], v[104:105], v[154:155]
	v_add_f64 v[250:251], v[66:67], v[250:251]
	v_mul_f64 v[230:231], v[184:185], s[28:29]
	v_add_f64 v[210:211], v[210:211], v[250:251]
	v_fma_f64 v[250:251], s[20:21], v[182:183], v[192:193]
	v_accvgpr_write_b32 a50, v230
	v_mul_f64 v[240:241], v[202:203], s[22:23]
	v_add_f64 v[210:211], v[250:251], v[210:211]
	v_accvgpr_write_b32 a51, v231
	v_fma_f64 v[230:231], s[44:45], v[2:3], v[240:241]
	v_add_f64 v[210:211], v[232:233], v[210:211]
	v_mul_f64 v[144:145], v[144:145], s[36:37]
	v_add_f64 v[232:233], v[230:231], v[210:211]
	v_mul_f64 v[146:147], v[146:147], s[40:41]
	v_fma_f64 v[230:231], s[34:35], v[88:89], v[144:145]
	v_mul_f64 v[210:211], v[226:227], s[42:43]
	v_mul_f64 v[176:177], v[176:177], s[30:31]
	v_fma_f64 v[226:227], s[4:5], v[92:93], v[146:147]
	v_add_f64 v[230:231], v[64:65], v[230:231]
	v_mul_f64 v[246:247], v[88:89], s[28:29]
	v_add_f64 v[226:227], v[226:227], v[230:231]
	v_fma_f64 v[230:231], s[28:29], v[156:157], v[176:177]
	v_fmac_f64_e32 v[150:151], s[36:37], v[102:103]
	v_fma_f64 v[88:89], v[88:89], s[34:35], -v[144:145]
	v_mul_f64 v[170:171], v[92:93], s[22:23]
	v_mul_f64 v[10:11], v[10:11], s[24:25]
	v_add_f64 v[226:227], v[230:231], v[226:227]
	v_fma_f64 v[230:231], s[16:17], v[184:185], v[210:211]
	v_fmac_f64_e32 v[154:155], s[40:41], v[104:105]
	v_add_f64 v[102:103], v[66:67], v[150:151]
	v_fma_f64 v[92:93], v[92:93], s[4:5], -v[146:147]
	v_add_f64 v[88:89], v[64:65], v[88:89]
	v_add_f64 v[12:13], v[12:13], v[248:249]
	v_mul_f64 v[252:253], v[156:157], s[16:17]
	v_mul_f64 v[254:255], v[156:157], s[4:5]
	v_add_f64 v[226:227], v[230:231], v[226:227]
	v_fma_f64 v[230:231], s[22:23], v[198:199], v[10:11]
	v_fmac_f64_e32 v[192:193], s[30:31], v[182:183]
	v_add_f64 v[102:103], v[154:155], v[102:103]
	v_fma_f64 v[156:157], v[156:157], s[28:29], -v[176:177]
	v_add_f64 v[88:89], v[92:93], v[88:89]
	v_add_f64 v[16:17], v[16:17], v[234:235]
	;; [unrolled: 1-line block ×3, first 2 shown]
	v_add_f64 v[4:5], v[246:247], -v[4:5]
	v_add_f64 v[230:231], v[230:231], v[226:227]
	v_mul_f64 v[226:227], v[196:197], s[28:29]
	v_mul_f64 v[250:251], v[184:185], s[22:23]
	v_fmac_f64_e32 v[240:241], s[24:25], v[2:3]
	v_mul_f64 v[242:243], v[196:197], s[22:23]
	v_fmac_f64_e32 v[236:237], s[42:43], v[212:213]
	v_mul_f64 v[212:213], v[184:185], s[4:5]
	v_mul_f64 v[2:3], v[196:197], s[4:5]
	;; [unrolled: 1-line block ×4, first 2 shown]
	v_add_f64 v[102:103], v[192:193], v[102:103]
	v_fma_f64 v[184:185], v[184:185], s[16:17], -v[210:211]
	v_add_f64 v[88:89], v[156:157], v[88:89]
	v_add_f64 v[20:21], v[20:21], v[90:91]
	;; [unrolled: 1-line block ×3, first 2 shown]
	v_add_f64 v[6:7], v[170:171], -v[6:7]
	v_add_f64 v[4:5], v[64:65], v[4:5]
	v_mul_f64 v[150:151], v[202:203], s[34:35]
	v_add_f64 v[102:103], v[236:237], v[102:103]
	v_mul_f64 v[192:193], v[202:203], s[4:5]
	v_mul_f64 v[176:177], v[202:203], s[28:29]
	v_fma_f64 v[10:11], v[198:199], s[22:23], -v[10:11]
	v_mul_f64 v[202:203], v[202:203], s[16:17]
	v_add_f64 v[88:89], v[184:185], v[88:89]
	v_add_f64 v[22:23], v[22:23], v[196:197]
	;; [unrolled: 1-line block ×3, first 2 shown]
	v_add_f64 v[8:9], v[254:255], -v[8:9]
	v_add_f64 v[4:5], v[6:7], v[4:5]
	v_accvgpr_write_b32 a34, v168
	v_mul_f64 v[168:169], v[198:199], s[34:35]
	v_mul_f64 v[154:155], v[198:199], s[4:5]
	;; [unrolled: 1-line block ×4, first 2 shown]
	v_add_f64 v[104:105], v[240:241], v[102:103]
	v_add_f64 v[102:103], v[10:11], v[88:89]
	;; [unrolled: 1-line block ×4, first 2 shown]
	v_add_f64 v[14:15], v[182:183], -v[14:15]
	v_add_f64 v[4:5], v[8:9], v[4:5]
	v_add_f64 v[10:11], v[10:11], v[12:13]
	v_add_f64 v[12:13], v[198:199], -v[18:19]
	v_add_f64 v[4:5], v[14:15], v[4:5]
	v_add_f64 v[8:9], v[12:13], v[4:5]
	v_add_f64 v[12:13], v[216:217], v[244:245]
	v_add_f64 v[6:7], v[218:219], v[206:207]
	v_add_f64 v[12:13], v[66:67], v[12:13]
	v_accvgpr_read_b32 v14, a62
	v_add_f64 v[6:7], v[6:7], v[12:13]
	v_accvgpr_read_b32 v12, a66
	v_accvgpr_read_b32 v15, a63
	;; [unrolled: 1-line block ×3, first 2 shown]
	v_add_f64 v[14:15], v[14:15], -v[194:195]
	v_add_f64 v[4:5], v[224:225], v[238:239]
	v_add_f64 v[12:13], v[12:13], -v[200:201]
	v_add_f64 v[14:15], v[64:65], v[14:15]
	v_accvgpr_read_b32 v16, a56
	v_add_f64 v[4:5], v[4:5], v[6:7]
	v_add_f64 v[6:7], v[252:253], -v[214:215]
	v_add_f64 v[12:13], v[12:13], v[14:15]
	v_accvgpr_read_b32 v14, a60
	v_accvgpr_read_b32 v17, a57
	v_add_f64 v[6:7], v[6:7], v[12:13]
	v_accvgpr_read_b32 v12, a64
	v_accvgpr_read_b32 v15, a61
	v_add_f64 v[16:17], v[172:173], v[16:17]
	v_accvgpr_read_b32 v13, a65
	v_add_f64 v[14:15], v[174:175], v[14:15]
	v_add_f64 v[16:17], v[66:67], v[16:17]
	v_accvgpr_read_b32 v18, a48
	v_add_f64 v[12:13], v[180:181], v[12:13]
	v_add_f64 v[14:15], v[14:15], v[16:17]
	v_accvgpr_read_b32 v16, a54
	v_accvgpr_read_b32 v19, a49
	v_add_f64 v[12:13], v[12:13], v[14:15]
	v_accvgpr_read_b32 v14, a58
	v_accvgpr_read_b32 v17, a55
	v_add_f64 v[18:19], v[18:19], -v[162:163]
	v_accvgpr_read_b32 v15, a59
	v_add_f64 v[16:17], v[16:17], -v[164:165]
	v_add_f64 v[18:19], v[64:65], v[18:19]
	v_accvgpr_read_b32 v20, a40
	v_add_f64 v[2:3], v[228:229], v[2:3]
	v_add_f64 v[14:15], v[14:15], -v[166:167]
	v_add_f64 v[16:17], v[16:17], v[18:19]
	v_accvgpr_read_b32 v18, a46
	v_accvgpr_read_b32 v21, a41
	v_add_f64 v[2:3], v[2:3], v[4:5]
	v_add_f64 v[4:5], v[212:213], -v[220:221]
	v_add_f64 v[14:15], v[14:15], v[16:17]
	v_accvgpr_read_b32 v16, a52
	v_accvgpr_read_b32 v19, a47
	v_add_f64 v[20:21], v[98:99], v[20:21]
	v_add_f64 v[4:5], v[4:5], v[6:7]
	;; [unrolled: 1-line block ×3, first 2 shown]
	v_accvgpr_read_b32 v17, a53
	v_add_f64 v[18:19], v[100:101], v[18:19]
	v_add_f64 v[20:21], v[66:67], v[20:21]
	v_accvgpr_read_b32 v22, a36
	v_accvgpr_read_b32 v89, a43
	v_add_f64 v[0:1], v[0:1], v[176:177]
	v_add_f64 v[6:7], v[6:7], v[12:13]
	v_add_f64 v[12:13], v[250:251], -v[178:179]
	v_add_f64 v[16:17], v[106:107], v[16:17]
	v_add_f64 v[18:19], v[18:19], v[20:21]
	v_accvgpr_read_b32 v20, a38
	v_accvgpr_read_b32 v23, a37
	;; [unrolled: 1-line block ×3, first 2 shown]
	v_add_f64 v[2:3], v[0:1], v[2:3]
	v_add_f64 v[0:1], v[210:211], -v[222:223]
	v_add_f64 v[12:13], v[12:13], v[14:15]
	v_add_f64 v[14:15], v[152:153], v[226:227]
	;; [unrolled: 1-line block ×3, first 2 shown]
	v_accvgpr_read_b32 v18, a44
	v_accvgpr_read_b32 v21, a39
	v_add_f64 v[22:23], v[22:23], -v[88:89]
	v_add_f64 v[0:1], v[0:1], v[4:5]
	v_add_f64 v[4:5], v[190:191], v[192:193]
	;; [unrolled: 1-line block ×3, first 2 shown]
	v_accvgpr_read_b32 v16, a50
	v_accvgpr_read_b32 v19, a45
	v_add_f64 v[20:21], v[20:21], -v[94:95]
	v_add_f64 v[22:23], v[64:65], v[22:23]
	v_add_f64 v[6:7], v[4:5], v[6:7]
	v_add_f64 v[4:5], v[154:155], -v[186:187]
	v_accvgpr_read_b32 v17, a51
	v_add_f64 v[18:19], v[18:19], -v[96:97]
	v_add_f64 v[20:21], v[20:21], v[22:23]
	v_add_f64 v[4:5], v[4:5], v[12:13]
	;; [unrolled: 1-line block ×3, first 2 shown]
	v_add_f64 v[16:17], v[16:17], -v[148:149]
	v_add_f64 v[18:19], v[18:19], v[20:21]
	v_add_f64 v[14:15], v[12:13], v[14:15]
	v_add_f64 v[12:13], v[168:169], -v[158:159]
	v_add_f64 v[16:17], v[16:17], v[18:19]
	v_add_f64 v[12:13], v[12:13], v[16:17]
	;; [unrolled: 1-line block ×21, first 2 shown]
	v_accvgpr_read_b32 v20, a3
	v_accvgpr_read_b32 v21, a31
	v_add_f64 v[16:17], v[16:17], v[86:87]
	v_add_lshl_u32 v20, v21, v20, 4
	v_accvgpr_read_b32 v207, a17
	v_mov_b32_e32 v206, v205
	v_accvgpr_read_b32 v210, a30
	v_accvgpr_read_b32 v168, a34
	ds_write_b128 v20, v[16:19]
	ds_write_b128 v20, v[12:15] offset:48
	ds_write_b128 v20, v[4:7] offset:96
	;; [unrolled: 1-line block ×6, first 2 shown]
	v_accvgpr_read_b32 v232, a32
	ds_write_b128 v20, v[112:115] offset:336
	ds_write_b128 v20, v[124:127] offset:384
	;; [unrolled: 1-line block ×4, first 2 shown]
.LBB0_11:
	s_or_b64 exec, exec, s[26:27]
	s_waitcnt lgkmcnt(0)
	s_barrier
	ds_read_b128 v[128:131], v204
	ds_read_b128 v[152:155], v204 offset:4224
	ds_read_b128 v[148:151], v204 offset:8448
	;; [unrolled: 1-line block ×6, first 2 shown]
	v_accvgpr_read_b32 v0, a2
	v_cmp_gt_u16_e64 s[4:5], 33, v0
                                        ; implicit-def: $vgpr156_vgpr157
                                        ; implicit-def: $vgpr160_vgpr161
                                        ; implicit-def: $vgpr164_vgpr165
	s_and_saveexec_b64 s[16:17], s[4:5]
	s_cbranch_execz .LBB0_13
; %bb.12:
	ds_read_b128 v[112:115], v204 offset:3696
	ds_read_b128 v[124:127], v204 offset:7920
	;; [unrolled: 1-line block ×7, first 2 shown]
.LBB0_13:
	s_or_b64 exec, exec, s[16:17]
	s_movk_i32 s16, 0xf9
	v_accvgpr_read_b32 v2, a2
	v_mul_lo_u16_sdwa v0, v2, s16 dst_sel:DWORD dst_unused:UNUSED_PAD src0_sel:BYTE_0 src1_sel:DWORD
	v_lshrrev_b16_e32 v76, 13, v0
	v_mul_lo_u16_e32 v0, 33, v76
	v_sub_u16_e32 v0, v2, v0
	v_and_b32_e32 v77, 0xff, v0
	s_movk_i32 s16, 0x60
	v_mov_b64_e32 v[0:1], s[0:1]
	v_mad_u64_u32 v[0:1], s[16:17], v77, s16, v[0:1]
	s_mov_b32 s16, 0xf83f
	global_load_dwordx4 v[92:95], v[0:1], off offset:496
	global_load_dwordx4 v[100:103], v[0:1], off offset:480
	;; [unrolled: 1-line block ×6, first 2 shown]
	v_mul_u32_u24_sdwa v0, v168, s16 dst_sel:DWORD dst_unused:UNUSED_PAD src0_sel:WORD_0 src1_sel:DWORD
	v_lshrrev_b32_e32 v0, 21, v0
	v_mul_lo_u16_e32 v0, 33, v0
	v_sub_u16_e32 v78, v168, v0
	v_mul_lo_u16_e32 v170, 0x60, v78
	v_mov_b32_e32 v171, 0
	v_lshl_add_u64 v[0:1], s[0:1], 0, v[170:171]
	global_load_dwordx4 v[186:189], v[0:1], off offset:480
	global_load_dwordx4 v[182:185], v[0:1], off offset:496
	;; [unrolled: 1-line block ×6, first 2 shown]
	s_mov_b32 s18, 0x37e14327
	s_mov_b32 s16, 0x36b3c0b5
	;; [unrolled: 1-line block ×20, first 2 shown]
	s_waitcnt lgkmcnt(0)
	s_barrier
	s_waitcnt vmcnt(11)
	v_mul_f64 v[4:5], v[150:151], v[94:95]
	s_waitcnt vmcnt(10)
	v_mul_f64 v[0:1], v[154:155], v[102:103]
	v_mul_f64 v[2:3], v[152:153], v[102:103]
	;; [unrolled: 1-line block ×3, first 2 shown]
	s_waitcnt vmcnt(7)
	v_mul_f64 v[20:21], v[134:135], v[106:107]
	s_waitcnt vmcnt(6)
	v_mul_f64 v[16:17], v[138:139], v[110:111]
	v_mul_f64 v[8:9], v[146:147], v[98:99]
	;; [unrolled: 1-line block ×5, first 2 shown]
	s_waitcnt vmcnt(5)
	v_mul_f64 v[64:65], v[126:127], v[188:189]
	v_fma_f64 v[0:1], v[152:153], v[100:101], -v[0:1]
	v_fma_f64 v[4:5], v[148:149], v[92:93], -v[4:5]
	;; [unrolled: 1-line block ×4, first 2 shown]
	v_mul_f64 v[10:11], v[144:145], v[98:99]
	v_mul_f64 v[14:15], v[140:141], v[90:91]
	;; [unrolled: 1-line block ×3, first 2 shown]
	s_waitcnt vmcnt(4)
	v_mul_f64 v[66:67], v[122:123], v[184:185]
	v_fmac_f64_e32 v[2:3], v[154:155], v[100:101]
	v_fmac_f64_e32 v[6:7], v[150:151], v[92:93]
	v_fma_f64 v[8:9], v[144:145], v[96:97], -v[8:9]
	v_fma_f64 v[12:13], v[140:141], v[88:89], -v[12:13]
	v_fmac_f64_e32 v[18:19], v[138:139], v[108:109]
	v_fmac_f64_e32 v[22:23], v[134:135], v[104:105]
	v_fma_f64 v[124:125], v[124:125], v[186:187], -v[64:65]
	v_add_f64 v[64:65], v[0:1], v[20:21]
	v_add_f64 v[0:1], v[0:1], -v[20:21]
	v_add_f64 v[20:21], v[4:5], v[16:17]
	v_mul_f64 v[70:71], v[120:121], v[184:185]
	v_fmac_f64_e32 v[10:11], v[146:147], v[96:97]
	v_fmac_f64_e32 v[14:15], v[142:143], v[88:89]
	v_fma_f64 v[120:121], v[120:121], v[182:183], -v[66:67]
	v_add_f64 v[66:67], v[2:3], v[22:23]
	v_add_f64 v[2:3], v[2:3], -v[22:23]
	v_add_f64 v[22:23], v[6:7], v[18:19]
	v_add_f64 v[4:5], v[4:5], -v[16:17]
	;; [unrolled: 2-line block ×5, first 2 shown]
	v_add_f64 v[14:15], v[22:23], v[66:67]
	v_add_f64 v[134:135], v[8:9], v[4:5]
	;; [unrolled: 1-line block ×3, first 2 shown]
	v_fmac_f64_e32 v[68:69], v[126:127], v[186:187]
	v_add_f64 v[126:127], v[20:21], -v[64:65]
	v_add_f64 v[64:65], v[64:65], -v[16:17]
	;; [unrolled: 1-line block ×3, first 2 shown]
	v_add_f64 v[136:137], v[10:11], v[6:7]
	v_add_f64 v[138:139], v[8:9], -v[4:5]
	v_add_f64 v[8:9], v[0:1], -v[8:9]
	;; [unrolled: 1-line block ×3, first 2 shown]
	v_add_f64 v[14:15], v[18:19], v[14:15]
	v_add_f64 v[16:17], v[134:135], v[0:1]
	;; [unrolled: 1-line block ×3, first 2 shown]
	v_add_f64 v[132:133], v[22:23], -v[66:67]
	v_add_f64 v[66:67], v[66:67], -v[18:19]
	;; [unrolled: 1-line block ×6, first 2 shown]
	v_add_f64 v[18:19], v[136:137], v[2:3]
	v_add_f64 v[2:3], v[130:131], v[14:15]
	v_mov_b64_e32 v[142:143], v[0:1]
	v_mul_f64 v[64:65], v[64:65], s[18:19]
	v_mul_f64 v[66:67], v[66:67], s[18:19]
	;; [unrolled: 1-line block ×8, first 2 shown]
	v_fmac_f64_e32 v[142:143], s[24:25], v[12:13]
	v_mov_b64_e32 v[12:13], v[2:3]
	s_waitcnt vmcnt(3)
	v_mul_f64 v[74:75], v[116:117], v[86:87]
	s_waitcnt vmcnt(1)
	v_mul_f64 v[174:175], v[162:163], v[192:193]
	;; [unrolled: 2-line block ×3, first 2 shown]
	v_fmac_f64_e32 v[12:13], s[24:25], v[14:15]
	v_fma_f64 v[14:15], v[126:127], s[26:27], -v[128:129]
	v_fma_f64 v[128:129], v[132:133], s[26:27], -v[130:131]
	;; [unrolled: 1-line block ×3, first 2 shown]
	v_fmac_f64_e32 v[64:65], s[16:17], v[20:21]
	v_fma_f64 v[20:21], v[132:133], s[28:29], -v[66:67]
	v_fma_f64 v[132:133], v[8:9], s[36:37], -v[138:139]
	;; [unrolled: 1-line block ×3, first 2 shown]
	v_mul_f64 v[72:73], v[118:119], v[86:87]
	v_mul_f64 v[168:169], v[158:159], v[82:83]
	;; [unrolled: 1-line block ×5, first 2 shown]
	v_fmac_f64_e32 v[70:71], v[122:123], v[182:183]
	v_fmac_f64_e32 v[74:75], v[118:119], v[84:85]
	v_fma_f64 v[118:119], v[160:161], v[190:191], -v[174:175]
	v_fma_f64 v[122:123], v[164:165], v[194:195], -v[178:179]
	v_fmac_f64_e32 v[66:67], s[16:17], v[22:23]
	v_fma_f64 v[22:23], v[4:5], s[20:21], -v[134:135]
	v_fma_f64 v[130:131], v[6:7], s[20:21], -v[136:137]
	v_add_f64 v[126:127], v[126:127], v[142:143]
	v_fmac_f64_e32 v[138:139], s[34:35], v[18:19]
	v_fma_f64 v[72:73], v[116:117], v[84:85], -v[72:73]
	v_fma_f64 v[116:117], v[156:157], v[80:81], -v[168:169]
	v_fmac_f64_e32 v[172:173], v[158:159], v[80:81]
	v_fmac_f64_e32 v[176:177], v[162:163], v[190:191]
	;; [unrolled: 1-line block ×5, first 2 shown]
	v_add_f64 v[64:65], v[64:65], v[142:143]
	v_add_f64 v[140:141], v[14:15], v[142:143]
	v_add_f64 v[128:129], v[128:129], v[12:13]
	v_add_f64 v[142:143], v[20:21], v[12:13]
	v_fmac_f64_e32 v[22:23], s[34:35], v[16:17]
	v_fmac_f64_e32 v[130:131], s[34:35], v[18:19]
	;; [unrolled: 1-line block ×3, first 2 shown]
	v_add_f64 v[8:9], v[138:139], v[126:127]
	v_add_f64 v[20:21], v[126:127], -v[138:139]
	v_add_f64 v[126:127], v[124:125], v[122:123]
	v_add_f64 v[122:123], v[124:125], -v[122:123]
	v_add_f64 v[124:125], v[120:121], v[118:119]
	v_add_f64 v[66:67], v[66:67], v[12:13]
	v_fmac_f64_e32 v[134:135], s[34:35], v[16:17]
	v_fmac_f64_e32 v[136:137], s[34:35], v[18:19]
	v_add_f64 v[10:11], v[142:143], -v[132:133]
	v_add_f64 v[12:13], v[140:141], -v[130:131]
	v_add_f64 v[14:15], v[22:23], v[128:129]
	v_add_f64 v[16:17], v[130:131], v[140:141]
	v_add_f64 v[18:19], v[128:129], -v[22:23]
	v_add_f64 v[22:23], v[132:133], v[142:143]
	v_add_f64 v[128:129], v[68:69], v[180:181]
	;; [unrolled: 1-line block ×3, first 2 shown]
	v_add_f64 v[118:119], v[120:121], -v[118:119]
	v_add_f64 v[70:71], v[70:71], -v[176:177]
	v_add_f64 v[120:121], v[72:73], v[116:117]
	v_add_f64 v[132:133], v[74:75], v[172:173]
	v_add_f64 v[72:73], v[116:117], -v[72:73]
	v_add_f64 v[74:75], v[172:173], -v[74:75]
	v_add_f64 v[116:117], v[124:125], v[126:127]
	v_add_f64 v[4:5], v[136:137], v[64:65]
	v_add_f64 v[6:7], v[66:67], -v[134:135]
	v_add_f64 v[64:65], v[64:65], -v[136:137]
	v_add_f64 v[66:67], v[134:135], v[66:67]
	v_add_f64 v[68:69], v[68:69], -v[180:181]
	v_add_f64 v[134:135], v[130:131], v[128:129]
	v_add_f64 v[136:137], v[124:125], -v[126:127]
	v_add_f64 v[124:125], v[120:121], -v[124:125]
	v_add_f64 v[142:143], v[74:75], v[70:71]
	v_add_f64 v[146:147], v[74:75], -v[70:71]
	v_add_f64 v[116:117], v[120:121], v[116:117]
	v_add_f64 v[138:139], v[130:131], -v[128:129]
	v_add_f64 v[126:127], v[126:127], -v[120:121]
	;; [unrolled: 1-line block ×4, first 2 shown]
	v_add_f64 v[140:141], v[72:73], v[118:119]
	v_add_f64 v[144:145], v[72:73], -v[118:119]
	v_add_f64 v[74:75], v[68:69], -v[74:75]
	;; [unrolled: 1-line block ×3, first 2 shown]
	v_add_f64 v[120:121], v[132:133], v[134:135]
	v_add_f64 v[68:69], v[142:143], v[68:69]
	;; [unrolled: 1-line block ×3, first 2 shown]
	v_mul_f64 v[132:133], v[124:125], s[16:17]
	v_mul_f64 v[142:143], v[146:147], s[22:23]
	v_add_f64 v[72:73], v[122:123], -v[72:73]
	v_add_f64 v[118:119], v[118:119], -v[122:123]
	v_add_f64 v[122:123], v[140:141], v[122:123]
	v_add_f64 v[114:115], v[114:115], v[120:121]
	v_mul_f64 v[134:135], v[130:131], s[16:17]
	v_mul_f64 v[140:141], v[144:145], s[22:23]
	;; [unrolled: 1-line block ×3, first 2 shown]
	v_fma_f64 v[116:117], s[24:25], v[116:117], v[112:113]
	v_fma_f64 v[132:133], v[136:137], s[26:27], -v[132:133]
	v_fma_f64 v[70:71], v[70:71], s[20:21], -v[142:143]
	v_mul_f64 v[126:127], v[126:127], s[18:19]
	v_mul_f64 v[144:145], v[118:119], s[20:21]
	v_fma_f64 v[120:121], s[24:25], v[120:121], v[114:115]
	v_fma_f64 v[134:135], v[138:139], s[26:27], -v[134:135]
	v_fma_f64 v[118:119], v[118:119], s[20:21], -v[140:141]
	v_fmac_f64_e32 v[142:143], s[30:31], v[74:75]
	v_fma_f64 v[74:75], v[74:75], s[36:37], -v[146:147]
	v_add_f64 v[132:133], v[132:133], v[116:117]
	v_fmac_f64_e32 v[70:71], s[34:35], v[68:69]
	v_mul_f64 v[128:129], v[128:129], s[18:19]
	v_fma_f64 v[124:125], s[16:17], v[124:125], v[126:127]
	v_fma_f64 v[126:127], v[136:137], s[28:29], -v[126:127]
	v_add_f64 v[134:135], v[134:135], v[120:121]
	v_fmac_f64_e32 v[142:143], s[34:35], v[68:69]
	v_fmac_f64_e32 v[118:119], s[34:35], v[122:123]
	;; [unrolled: 1-line block ×3, first 2 shown]
	v_add_f64 v[68:69], v[70:71], v[132:133]
	v_fma_f64 v[136:137], v[138:139], s[28:29], -v[128:129]
	v_fmac_f64_e32 v[128:129], s[16:17], v[130:131]
	v_fma_f64 v[130:131], s[30:31], v[72:73], v[140:141]
	v_fma_f64 v[72:73], v[72:73], s[36:37], -v[144:145]
	v_add_f64 v[124:125], v[124:125], v[116:117]
	v_add_f64 v[116:117], v[126:127], v[116:117]
	v_add_f64 v[156:157], v[132:133], -v[70:71]
	v_add_f64 v[70:71], v[134:135], -v[118:119]
	v_accvgpr_write_b32 a56, v68
	v_add_f64 v[128:129], v[128:129], v[120:121]
	v_add_f64 v[120:121], v[136:137], v[120:121]
	v_fmac_f64_e32 v[72:73], s[34:35], v[122:123]
	v_accvgpr_write_b32 a57, v69
	v_accvgpr_write_b32 a58, v70
	;; [unrolled: 1-line block ×3, first 2 shown]
	v_add_f64 v[68:69], v[116:117], -v[74:75]
	v_add_f64 v[70:71], v[72:73], v[120:121]
	v_accvgpr_write_b32 a60, v68
	v_fmac_f64_e32 v[130:131], s[34:35], v[122:123]
	v_accvgpr_write_b32 a61, v69
	v_accvgpr_write_b32 a62, v70
	;; [unrolled: 1-line block ×3, first 2 shown]
	v_add_f64 v[68:69], v[124:125], -v[142:143]
	v_add_f64 v[70:71], v[130:131], v[128:129]
	v_accvgpr_write_b32 a64, v68
	v_accvgpr_write_b32 a44, v186
	;; [unrolled: 1-line block ×9, first 2 shown]
	v_mul_u32_u24_e32 v68, 0xe7, v76
	v_accvgpr_write_b32 a45, v187
	v_accvgpr_write_b32 a46, v188
	;; [unrolled: 1-line block ×15, first 2 shown]
	v_add_f64 v[160:161], v[142:143], v[124:125]
	v_add_f64 v[162:163], v[128:129], -v[130:131]
	v_add_f64 v[152:153], v[74:75], v[116:117]
	v_add_f64 v[154:155], v[120:121], -v[72:73]
	v_add_f64 v[158:159], v[118:119], v[134:135]
	v_add_lshl_u32 v205, v68, v77, 4
	v_lshlrev_b32_e32 v71, 4, v78
	ds_write_b128 v205, v[0:3]
	ds_write_b128 v205, v[4:7] offset:528
	ds_write_b128 v205, v[8:11] offset:1056
	ds_write_b128 v205, v[12:15] offset:1584
	ds_write_b128 v205, v[16:19] offset:2112
	ds_write_b128 v205, v[20:23] offset:2640
	ds_write_b128 v205, v[64:67] offset:3168
	s_and_saveexec_b64 s[16:17], s[4:5]
	s_cbranch_execz .LBB0_15
; %bb.14:
	ds_write_b128 v71, v[112:115] offset:25872
	ds_write_b128 v71, v[160:163] offset:26400
	;; [unrolled: 1-line block ×7, first 2 shown]
.LBB0_15:
	s_or_b64 exec, exec, s[16:17]
	v_accvgpr_read_b32 v132, a2
	v_lshlrev_b32_e32 v170, 4, v132
	v_lshl_add_u64 v[176:177], s[14:15], 0, v[170:171]
	v_lshlrev_b32_e32 v170, 4, v232
	s_waitcnt lgkmcnt(0)
	s_barrier
	global_load_dwordx4 v[120:123], v170, s[0:1] offset:3648
	global_load_dwordx4 v[116:119], v170, s[0:1] offset:3664
	;; [unrolled: 1-line block ×3, first 2 shown]
	ds_read_b128 v[140:143], v204
	ds_read_b128 v[136:139], v204 offset:3696
	ds_read_b128 v[0:3], v204 offset:7392
	;; [unrolled: 1-line block ×7, first 2 shown]
	v_lshlrev_b32_e32 v70, 5, v132
	v_lshl_add_u64 v[64:65], s[0:1], 0, v[170:171]
	s_waitcnt lgkmcnt(0)
	s_barrier
	s_movk_i32 s0, 0x3000
	s_movk_i32 s14, 0x4000
	;; [unrolled: 1-line block ×4, first 2 shown]
	s_waitcnt vmcnt(2)
	v_mul_f64 v[12:13], v[2:3], v[122:123]
	v_mul_f64 v[14:15], v[0:1], v[122:123]
	s_waitcnt vmcnt(1)
	v_mul_f64 v[16:17], v[6:7], v[118:119]
	v_mul_f64 v[18:19], v[4:5], v[118:119]
	;; [unrolled: 3-line block ×3, first 2 shown]
	v_mul_f64 v[66:67], v[146:147], v[122:123]
	v_mul_f64 v[72:73], v[150:151], v[118:119]
	;; [unrolled: 1-line block ×6, first 2 shown]
	v_fma_f64 v[0:1], v[0:1], v[120:121], -v[12:13]
	v_fmac_f64_e32 v[14:15], v[2:3], v[120:121]
	v_fma_f64 v[2:3], v[4:5], v[116:117], -v[16:17]
	v_fmac_f64_e32 v[18:19], v[6:7], v[116:117]
	;; [unrolled: 2-line block ×3, first 2 shown]
	v_fma_f64 v[6:7], v[144:145], v[120:121], -v[66:67]
	v_fma_f64 v[8:9], v[148:149], v[116:117], -v[72:73]
	;; [unrolled: 1-line block ×3, first 2 shown]
	v_fmac_f64_e32 v[68:69], v[146:147], v[120:121]
	v_fmac_f64_e32 v[74:75], v[150:151], v[116:117]
	;; [unrolled: 1-line block ×3, first 2 shown]
	v_add_f64 v[12:13], v[140:141], -v[2:3]
	v_add_f64 v[16:17], v[142:143], -v[18:19]
	;; [unrolled: 1-line block ×8, first 2 shown]
	v_fma_f64 v[72:73], v[142:143], 2.0, -v[16:17]
	v_fma_f64 v[18:19], v[0:1], 2.0, -v[2:3]
	;; [unrolled: 1-line block ×3, first 2 shown]
	v_add_f64 v[2:3], v[16:17], v[2:3]
	v_fma_f64 v[74:75], v[136:137], 2.0, -v[20:21]
	v_fma_f64 v[126:127], v[6:7], 2.0, -v[8:9]
	;; [unrolled: 1-line block ×3, first 2 shown]
	v_add_f64 v[0:1], v[12:13], -v[4:5]
	v_fma_f64 v[124:125], v[138:139], 2.0, -v[22:23]
	v_fma_f64 v[68:69], v[68:69], 2.0, -v[10:11]
	v_add_f64 v[4:5], v[20:21], -v[10:11]
	v_add_f64 v[10:11], v[72:73], -v[14:15]
	v_fma_f64 v[14:15], v[16:17], 2.0, -v[2:3]
	v_add_f64 v[16:17], v[74:75], -v[126:127]
	v_add_f64 v[6:7], v[22:23], v[8:9]
	v_add_f64 v[8:9], v[66:67], -v[18:19]
	v_fma_f64 v[12:13], v[12:13], 2.0, -v[0:1]
	v_add_f64 v[18:19], v[124:125], -v[68:69]
	v_fma_f64 v[20:21], v[20:21], 2.0, -v[4:5]
	ds_write_b128 v204, v[0:3] offset:11088
	ds_write_b128 v204, v[4:7] offset:25872
	v_fma_f64 v[4:5], v[74:75], 2.0, -v[16:17]
	v_fma_f64 v[22:23], v[22:23], 2.0, -v[6:7]
	;; [unrolled: 1-line block ×5, first 2 shown]
	ds_write_b128 v204, v[12:15] offset:3696
	ds_write_b128 v204, v[8:11] offset:7392
	;; [unrolled: 1-line block ×4, first 2 shown]
	ds_write_b128 v204, v[0:3]
	ds_write_b128 v204, v[4:7] offset:14784
	v_sub_co_u32_e32 v4, vcc, v64, v70
	s_waitcnt lgkmcnt(0)
	s_nop 0
	v_subbrev_co_u32_e32 v5, vcc, 0, v65, vcc
	v_add_co_u32_e32 v0, vcc, s0, v4
	s_movk_i32 s0, 0x5000
	s_nop 0
	v_addc_co_u32_e32 v1, vcc, 0, v5, vcc
	v_add_co_u32_e32 v2, vcc, s14, v4
	s_barrier
	s_nop 0
	v_addc_co_u32_e32 v3, vcc, 0, v5, vcc
	global_load_dwordx4 v[140:143], v[0:1], off offset:2448
	global_load_dwordx4 v[136:139], v[2:3], off offset:2048
	v_add_co_u32_e32 v0, vcc, s0, v4
	s_mov_b64 s[0:1], 0x7380
	s_nop 0
	v_addc_co_u32_e32 v1, vcc, 0, v5, vcc
	global_load_dwordx4 v[144:147], v[0:1], off offset:1648
	v_add_co_u32_e32 v0, vcc, s15, v4
	v_lshl_add_u64 v[164:165], v[176:177], 0, s[0:1]
	s_nop 0
	v_addc_co_u32_e32 v1, vcc, 0, v5, vcc
	global_load_dwordx4 v[148:151], v[0:1], off offset:1248
	ds_read_b128 v[0:3], v204
	ds_read_b128 v[4:7], v204 offset:3696
	ds_read_b128 v[8:11], v204 offset:14784
	;; [unrolled: 1-line block ×7, first 2 shown]
	s_mov_b32 s0, 0x9000
	s_waitcnt vmcnt(3) lgkmcnt(5)
	v_mul_f64 v[68:69], v[10:11], v[142:143]
	v_mul_f64 v[72:73], v[8:9], v[142:143]
	s_waitcnt vmcnt(2) lgkmcnt(4)
	v_mul_f64 v[74:75], v[14:15], v[138:139]
	v_mul_f64 v[128:129], v[12:13], v[138:139]
	v_fma_f64 v[8:9], v[8:9], v[140:141], -v[68:69]
	v_fmac_f64_e32 v[72:73], v[10:11], v[140:141]
	v_fma_f64 v[12:13], v[12:13], v[136:137], -v[74:75]
	s_waitcnt vmcnt(1) lgkmcnt(1)
	v_mul_f64 v[130:131], v[66:67], v[146:147]
	v_mul_f64 v[166:167], v[64:65], v[146:147]
	v_fmac_f64_e32 v[128:129], v[14:15], v[136:137]
	v_fma_f64 v[64:65], v[64:65], v[144:145], -v[130:131]
	v_fmac_f64_e32 v[166:167], v[66:67], v[144:145]
	v_add_f64 v[8:9], v[0:1], -v[8:9]
	s_waitcnt vmcnt(0) lgkmcnt(0)
	v_mul_f64 v[168:169], v[126:127], v[150:151]
	v_mul_f64 v[170:171], v[124:125], v[150:151]
	v_fma_f64 v[68:69], v[124:125], v[148:149], -v[168:169]
	v_fmac_f64_e32 v[170:171], v[126:127], v[148:149]
	v_add_f64 v[10:11], v[2:3], -v[72:73]
	v_add_f64 v[12:13], v[4:5], -v[12:13]
	;; [unrolled: 1-line block ×7, first 2 shown]
	v_fma_f64 v[0:1], v[0:1], 2.0, -v[8:9]
	v_fma_f64 v[2:3], v[2:3], 2.0, -v[10:11]
	;; [unrolled: 1-line block ×8, first 2 shown]
	ds_write_b128 v204, v[8:11] offset:14784
	ds_write_b128 v204, v[12:15] offset:18480
	;; [unrolled: 1-line block ×4, first 2 shown]
	ds_write_b128 v204, v[0:3]
	ds_write_b128 v204, v[4:7] offset:3696
	ds_write_b128 v204, v[16:19] offset:7392
	;; [unrolled: 1-line block ×3, first 2 shown]
	v_add_co_u32_e32 v0, vcc, s16, v176
	s_waitcnt lgkmcnt(0)
	s_nop 0
	v_addc_co_u32_e32 v1, vcc, 0, v177, vcc
	v_add_co_u32_e32 v4, vcc, s0, v176
	s_mov_b32 s0, 0xc000
	s_nop 0
	v_addc_co_u32_e32 v5, vcc, 0, v177, vcc
	v_add_co_u32_e32 v20, vcc, s0, v176
	s_mov_b32 s0, 0xa000
	s_nop 0
	v_addc_co_u32_e32 v21, vcc, 0, v177, vcc
	v_add_co_u32_e32 v16, vcc, s0, v176
	s_barrier
	global_load_dwordx4 v[0:3], v[0:1], off offset:896
	v_addc_co_u32_e32 v17, vcc, 0, v177, vcc
	global_load_dwordx4 v[4:7], v[4:5], off offset:2560
	s_nop 0
	global_load_dwordx4 v[8:11], v[20:21], off offset:128
	global_load_dwordx4 v[12:15], v[164:165], off offset:3696
	s_nop 0
	global_load_dwordx4 v[16:19], v[16:17], off offset:2160
	s_nop 0
	global_load_dwordx4 v[20:23], v[20:21], off offset:3824
	ds_read_b128 v[64:67], v204
	ds_read_b128 v[124:127], v204 offset:3696
	ds_read_b128 v[128:131], v204 offset:9856
	;; [unrolled: 1-line block ×5, first 2 shown]
	s_waitcnt vmcnt(5) lgkmcnt(5)
	v_mul_f64 v[68:69], v[66:67], v[2:3]
	v_mul_f64 v[190:191], v[64:65], v[2:3]
	s_waitcnt vmcnt(4) lgkmcnt(3)
	v_mul_f64 v[72:73], v[130:131], v[6:7]
	v_mul_f64 v[2:3], v[128:129], v[6:7]
	;; [unrolled: 3-line block ×3, first 2 shown]
	s_waitcnt vmcnt(2)
	v_mul_f64 v[166:167], v[126:127], v[14:15]
	v_mul_f64 v[10:11], v[124:125], v[14:15]
	s_waitcnt vmcnt(1)
	v_mul_f64 v[192:193], v[178:179], v[18:19]
	v_mul_f64 v[14:15], v[176:177], v[18:19]
	s_waitcnt vmcnt(0) lgkmcnt(0)
	v_mul_f64 v[194:195], v[186:187], v[22:23]
	v_mul_f64 v[18:19], v[184:185], v[22:23]
	v_fma_f64 v[188:189], v[64:65], v[0:1], -v[68:69]
	v_fmac_f64_e32 v[190:191], v[66:67], v[0:1]
	v_fma_f64 v[0:1], v[128:129], v[4:5], -v[72:73]
	v_fmac_f64_e32 v[2:3], v[130:131], v[4:5]
	;; [unrolled: 2-line block ×6, first 2 shown]
	ds_write_b128 v204, v[188:191]
	ds_write_b128 v204, v[0:3] offset:9856
	ds_write_b128 v204, v[4:7] offset:19712
	;; [unrolled: 1-line block ×5, first 2 shown]
	s_and_saveexec_b64 s[0:1], s[6:7]
	s_cbranch_execz .LBB0_17
; %bb.16:
	v_add_co_u32_e32 v0, vcc, 0x1000, v164
	s_nop 1
	v_addc_co_u32_e32 v1, vcc, 0, v165, vcc
	v_add_co_u32_e32 v4, vcc, s15, v164
	global_load_dwordx4 v[0:3], v[0:1], off offset:3296
	s_nop 0
	v_addc_co_u32_e32 v5, vcc, 0, v165, vcc
	global_load_dwordx4 v[4:7], v[4:5], off offset:2528
	v_add_co_u32_e32 v8, vcc, s14, v164
	s_nop 1
	v_addc_co_u32_e32 v9, vcc, 0, v165, vcc
	global_load_dwordx4 v[8:11], v[8:9], off offset:864
	ds_read_b128 v[12:15], v204 offset:27104
	ds_read_b128 v[16:19], v204 offset:7392
	;; [unrolled: 1-line block ×3, first 2 shown]
	s_waitcnt vmcnt(2) lgkmcnt(1)
	v_mul_f64 v[68:69], v[18:19], v[2:3]
	s_waitcnt vmcnt(1)
	v_mul_f64 v[64:65], v[14:15], v[6:7]
	v_mul_f64 v[66:67], v[12:13], v[6:7]
	;; [unrolled: 1-line block ×3, first 2 shown]
	v_fma_f64 v[64:65], v[12:13], v[4:5], -v[64:65]
	v_fmac_f64_e32 v[66:67], v[14:15], v[4:5]
	v_fma_f64 v[4:5], v[16:17], v[0:1], -v[68:69]
	s_waitcnt vmcnt(0) lgkmcnt(0)
	v_mul_f64 v[72:73], v[22:23], v[10:11]
	v_mul_f64 v[2:3], v[20:21], v[10:11]
	v_fmac_f64_e32 v[6:7], v[18:19], v[0:1]
	v_fma_f64 v[0:1], v[20:21], v[8:9], -v[72:73]
	v_fmac_f64_e32 v[2:3], v[22:23], v[8:9]
	ds_write_b128 v204, v[4:7] offset:7392
	ds_write_b128 v204, v[0:3] offset:17248
	;; [unrolled: 1-line block ×3, first 2 shown]
.LBB0_17:
	s_or_b64 exec, exec, s[0:1]
	s_waitcnt lgkmcnt(0)
	s_barrier
	ds_read_b128 v[176:179], v204
	ds_read_b128 v[180:183], v204 offset:3696
	ds_read_b128 v[186:189], v204 offset:9856
	;; [unrolled: 1-line block ×5, first 2 shown]
	s_and_saveexec_b64 s[0:1], s[6:7]
	s_cbranch_execz .LBB0_19
; %bb.18:
	ds_read_b128 v[168:171], v204 offset:7392
	ds_read_b128 v[172:175], v204 offset:17248
	ds_read_b128 v[160:163], v204 offset:27104
.LBB0_19:
	s_or_b64 exec, exec, s[0:1]
	s_waitcnt lgkmcnt(3)
	v_add_f64 v[0:1], v[176:177], v[186:187]
	s_waitcnt lgkmcnt(1)
	v_add_f64 v[164:165], v[0:1], v[190:191]
	v_add_f64 v[0:1], v[186:187], v[190:191]
	s_mov_b32 s0, 0xe8584caa
	v_fmac_f64_e32 v[176:177], -0.5, v[0:1]
	v_add_f64 v[0:1], v[188:189], -v[192:193]
	s_mov_b32 s1, 0xbfebb67a
	s_mov_b32 s15, 0x3febb67a
	;; [unrolled: 1-line block ×3, first 2 shown]
	v_fma_f64 v[184:185], s[0:1], v[0:1], v[176:177]
	v_fmac_f64_e32 v[176:177], s[14:15], v[0:1]
	v_add_f64 v[0:1], v[178:179], v[188:189]
	v_add_f64 v[166:167], v[0:1], v[192:193]
	;; [unrolled: 1-line block ×3, first 2 shown]
	v_fmac_f64_e32 v[178:179], -0.5, v[0:1]
	v_add_f64 v[0:1], v[186:187], -v[190:191]
	v_fma_f64 v[186:187], s[14:15], v[0:1], v[178:179]
	v_fmac_f64_e32 v[178:179], s[0:1], v[0:1]
	v_add_f64 v[0:1], v[180:181], v[194:195]
	s_waitcnt lgkmcnt(0)
	v_add_f64 v[188:189], v[0:1], v[198:199]
	v_add_f64 v[0:1], v[194:195], v[198:199]
	v_fmac_f64_e32 v[180:181], -0.5, v[0:1]
	v_add_f64 v[0:1], v[196:197], -v[200:201]
	v_fma_f64 v[192:193], s[0:1], v[0:1], v[180:181]
	v_fmac_f64_e32 v[180:181], s[14:15], v[0:1]
	v_add_f64 v[0:1], v[182:183], v[196:197]
	v_add_f64 v[190:191], v[0:1], v[200:201]
	v_add_f64 v[0:1], v[196:197], v[200:201]
	v_fmac_f64_e32 v[182:183], -0.5, v[0:1]
	v_add_f64 v[0:1], v[194:195], -v[198:199]
	v_fma_f64 v[194:195], s[14:15], v[0:1], v[182:183]
	v_fmac_f64_e32 v[182:183], s[0:1], v[0:1]
	v_add_f64 v[0:1], v[172:173], v[168:169]
	;; [unrolled: 7-line block ×3, first 2 shown]
	v_add_f64 v[198:199], v[162:163], v[0:1]
	v_add_f64 v[0:1], v[174:175], v[162:163]
	v_fmac_f64_e32 v[170:171], -0.5, v[0:1]
	v_add_f64 v[0:1], v[172:173], -v[160:161]
	v_fma_f64 v[202:203], s[14:15], v[0:1], v[170:171]
	v_fmac_f64_e32 v[170:171], s[0:1], v[0:1]
	s_barrier
	ds_write_b128 v206, v[164:167]
	ds_write_b128 v206, v[184:187] offset:16
	ds_write_b128 v206, v[176:179] offset:32
	ds_write_b128 v207, v[188:191]
	ds_write_b128 v207, v[192:195] offset:16
	ds_write_b128 v207, v[180:183] offset:32
	s_and_saveexec_b64 s[0:1], s[6:7]
	s_cbranch_execz .LBB0_21
; %bb.20:
	v_lshlrev_b32_e32 v0, 4, v210
	ds_write_b128 v0, v[196:199]
	ds_write_b128 v0, v[200:203] offset:16
	ds_write_b128 v0, v[168:171] offset:32
.LBB0_21:
	s_or_b64 exec, exec, s[0:1]
	s_waitcnt lgkmcnt(0)
	s_barrier
	s_and_saveexec_b64 s[0:1], s[2:3]
	s_cbranch_execz .LBB0_23
; %bb.22:
	ds_read_b128 v[164:167], v204
	ds_read_b128 v[184:187], v204 offset:2688
	ds_read_b128 v[176:179], v204 offset:5376
	;; [unrolled: 1-line block ×10, first 2 shown]
.LBB0_23:
	s_or_b64 exec, exec, s[0:1]
	s_waitcnt lgkmcnt(9)
	v_mul_f64 v[160:161], v[38:39], v[186:187]
	v_mul_f64 v[0:1], v[38:39], v[184:185]
	v_fmac_f64_e32 v[160:161], v[36:37], v[184:185]
	v_fma_f64 v[184:185], v[36:37], v[186:187], -v[0:1]
	s_waitcnt lgkmcnt(8)
	v_mul_f64 v[0:1], v[34:35], v[176:177]
	v_mul_f64 v[162:163], v[34:35], v[178:179]
	v_fma_f64 v[178:179], v[32:33], v[178:179], -v[0:1]
	s_waitcnt lgkmcnt(7)
	v_mul_f64 v[0:1], v[30:31], v[188:189]
	v_mul_f64 v[172:173], v[30:31], v[190:191]
	v_fma_f64 v[186:187], v[28:29], v[190:191], -v[0:1]
	s_waitcnt lgkmcnt(6)
	v_mul_f64 v[0:1], v[26:27], v[192:193]
	v_fmac_f64_e32 v[162:163], v[32:33], v[176:177]
	v_fmac_f64_e32 v[172:173], v[28:29], v[188:189]
	v_fma_f64 v[188:189], v[24:25], v[194:195], -v[0:1]
	s_waitcnt lgkmcnt(5)
	v_mul_f64 v[176:177], v[54:55], v[182:183]
	v_mul_f64 v[0:1], v[54:55], v[180:181]
	v_fmac_f64_e32 v[176:177], v[52:53], v[180:181]
	v_fma_f64 v[54:55], v[52:53], v[182:183], -v[0:1]
	s_waitcnt lgkmcnt(4)
	v_mul_f64 v[52:53], v[50:51], v[198:199]
	v_mul_f64 v[0:1], v[50:51], v[196:197]
	;; [unrolled: 5-line block ×6, first 2 shown]
	v_fmac_f64_e32 v[42:43], v[56:57], v[156:157]
	v_fma_f64 v[56:57], v[56:57], v[158:159], -v[0:1]
	s_mov_b32 s16, 0xd9c712b6
	v_add_f64 v[196:197], v[56:57], v[184:185]
	s_mov_b32 s17, 0x3fda9628
	s_mov_b32 s34, 0x8eee2c13
	;; [unrolled: 1-line block ×3, first 2 shown]
	v_add_f64 v[230:231], v[160:161], -v[42:43]
	v_add_f64 v[222:223], v[184:185], -v[56:57]
	s_mov_b32 s35, 0xbfed1bb4
	v_mul_f64 v[154:155], v[196:197], s[16:17]
	s_mov_b32 s20, 0x640f44db
	s_mov_b32 s29, 0xbfefac9e
	v_add_f64 v[180:181], v[42:43], v[160:161]
	v_fma_f64 v[6:7], s[34:35], v[230:231], v[154:155]
	s_mov_b32 s21, 0xbfc2375f
	v_mul_f64 v[170:171], v[222:223], s[28:29]
	s_mov_b32 s24, 0xbb3a28a1
	v_add_f64 v[8:9], v[166:167], v[6:7]
	v_mul_f64 v[190:191], v[196:197], s[20:21]
	v_fma_f64 v[6:7], v[180:181], s[20:21], -v[170:171]
	s_mov_b32 s22, 0x7f775887
	s_mov_b32 s25, 0xbfe82f19
	v_add_f64 v[10:11], v[164:165], v[6:7]
	v_fma_f64 v[6:7], s[28:29], v[230:231], v[190:191]
	s_mov_b32 s23, 0xbfe4f49e
	v_mul_f64 v[200:201], v[222:223], s[24:25]
	s_mov_b32 s18, 0xf8bb580b
	v_add_f64 v[12:13], v[166:167], v[6:7]
	v_mul_f64 v[214:215], v[196:197], s[22:23]
	v_fma_f64 v[6:7], v[180:181], s[22:23], -v[200:201]
	s_mov_b32 s14, 0x8764f0ba
	s_mov_b32 s19, 0xbfe14ced
	v_add_f64 v[16:17], v[164:165], v[6:7]
	v_fma_f64 v[6:7], s[24:25], v[230:231], v[214:215]
	s_mov_b32 s15, 0x3feaeb8c
	v_mul_f64 v[58:59], v[222:223], s[18:19]
	v_add_f64 v[18:19], v[166:167], v[6:7]
	v_add_f64 v[6:7], v[178:179], -v[60:61]
	v_mul_f64 v[62:63], v[196:197], s[14:15]
	v_fma_f64 v[0:1], v[180:181], s[14:15], -v[58:59]
	v_add_f64 v[226:227], v[40:41], v[162:163]
	v_add_f64 v[246:247], v[60:61], v[178:179]
	v_mul_f64 v[156:157], v[6:7], s[34:35]
	v_add_f64 v[0:1], v[164:165], v[0:1]
	v_fma_f64 v[2:3], s[18:19], v[230:231], v[62:63]
	v_mul_f64 v[84:85], v[222:223], s[34:35]
	v_add_f64 v[14:15], v[162:163], -v[40:41]
	v_mul_f64 v[158:159], v[246:247], s[16:17]
	v_fma_f64 v[20:21], v[226:227], s[16:17], -v[156:157]
	v_add_f64 v[2:3], v[166:167], v[2:3]
	v_fma_f64 v[4:5], v[180:181], s[16:17], -v[84:85]
	v_add_f64 v[0:1], v[20:21], v[0:1]
	v_fma_f64 v[20:21], s[34:35], v[14:15], v[158:159]
	v_mul_f64 v[182:183], v[6:7], s[24:25]
	s_mov_b32 s40, 0xfd768dbf
	v_mul_f64 v[174:175], v[26:27], v[194:195]
	v_add_f64 v[4:5], v[164:165], v[4:5]
	v_add_f64 v[2:3], v[20:21], v[2:3]
	v_mul_f64 v[194:195], v[246:247], s[22:23]
	v_fma_f64 v[20:21], v[226:227], s[22:23], -v[182:183]
	s_mov_b32 s26, 0x9bcd5057
	s_mov_b32 s41, 0x3fd207e7
	v_add_f64 v[4:5], v[20:21], v[4:5]
	v_fma_f64 v[20:21], s[24:25], v[14:15], v[194:195]
	s_mov_b32 s27, 0xbfeeb42a
	v_mul_f64 v[202:203], v[6:7], s[40:41]
	v_add_f64 v[8:9], v[20:21], v[8:9]
	v_mul_f64 v[218:219], v[246:247], s[26:27]
	v_fma_f64 v[20:21], v[226:227], s[26:27], -v[202:203]
	s_mov_b32 s37, 0x3fefac9e
	s_mov_b32 s36, s28
	v_add_f64 v[10:11], v[20:21], v[10:11]
	v_fma_f64 v[20:21], s[40:41], v[14:15], v[218:219]
	v_mul_f64 v[228:229], v[6:7], s[36:37]
	v_add_f64 v[20:21], v[20:21], v[12:13]
	v_mul_f64 v[238:239], v[246:247], s[20:21]
	v_fma_f64 v[12:13], v[226:227], s[20:21], -v[228:229]
	v_add_f64 v[16:17], v[12:13], v[16:17]
	v_fma_f64 v[12:13], s[36:37], v[14:15], v[238:239]
	v_add_f64 v[210:211], v[186:187], -v[168:169]
	v_fmac_f64_e32 v[174:175], v[24:25], v[192:193]
	v_add_f64 v[18:19], v[12:13], v[18:19]
	v_add_f64 v[254:255], v[172:173], v[44:45]
	;; [unrolled: 1-line block ×3, first 2 shown]
	v_mul_f64 v[192:193], v[210:211], s[28:29]
	v_add_f64 v[206:207], v[172:173], -v[44:45]
	v_mul_f64 v[198:199], v[12:13], s[20:21]
	v_fma_f64 v[22:23], v[254:255], s[20:21], -v[192:193]
	v_add_f64 v[0:1], v[22:23], v[0:1]
	v_fma_f64 v[22:23], s[28:29], v[206:207], v[198:199]
	v_mul_f64 v[212:213], v[210:211], s[40:41]
	v_add_f64 v[24:25], v[22:23], v[2:3]
	v_mul_f64 v[220:221], v[12:13], s[26:27]
	v_fma_f64 v[2:3], v[254:255], s[26:27], -v[212:213]
	s_mov_b32 s31, 0x3fed1bb4
	s_mov_b32 s30, s34
	v_add_f64 v[4:5], v[2:3], v[4:5]
	v_fma_f64 v[2:3], s[40:41], v[206:207], v[220:221]
	v_mul_f64 v[234:235], v[210:211], s[30:31]
	v_add_f64 v[8:9], v[2:3], v[8:9]
	v_mul_f64 v[242:243], v[12:13], s[16:17]
	v_fma_f64 v[2:3], v[254:255], s[16:17], -v[234:235]
	v_add_f64 v[10:11], v[2:3], v[10:11]
	v_fma_f64 v[2:3], s[30:31], v[206:207], v[242:243]
	v_mul_f64 v[250:251], v[210:211], s[18:19]
	v_add_f64 v[20:21], v[2:3], v[20:21]
	v_mul_f64 v[2:3], v[12:13], s[14:15]
	v_fma_f64 v[22:23], v[254:255], s[14:15], -v[250:251]
	v_add_f64 v[26:27], v[22:23], v[16:17]
	v_fma_f64 v[16:17], s[18:19], v[206:207], v[2:3]
	v_add_f64 v[64:65], v[188:189], -v[46:47]
	v_add_f64 v[28:29], v[16:17], v[18:19]
	v_add_f64 v[16:17], v[174:175], v[48:49]
	;; [unrolled: 1-line block ×3, first 2 shown]
	v_mul_f64 v[216:217], v[64:65], s[24:25]
	v_add_f64 v[22:23], v[174:175], -v[48:49]
	v_mul_f64 v[224:225], v[128:129], s[22:23]
	v_fma_f64 v[18:19], v[16:17], s[22:23], -v[216:217]
	v_add_f64 v[30:31], v[18:19], v[0:1]
	v_fma_f64 v[0:1], s[24:25], v[22:23], v[224:225]
	v_mul_f64 v[232:233], v[64:65], s[36:37]
	v_add_f64 v[24:25], v[0:1], v[24:25]
	v_mul_f64 v[240:241], v[128:129], s[20:21]
	v_fma_f64 v[0:1], v[16:17], s[20:21], -v[232:233]
	v_add_f64 v[32:33], v[0:1], v[4:5]
	v_fma_f64 v[0:1], s[36:37], v[22:23], v[240:241]
	v_mul_f64 v[248:249], v[64:65], s[18:19]
	v_add_f64 v[34:35], v[0:1], v[8:9]
	v_mul_f64 v[0:1], v[128:129], s[14:15]
	v_fma_f64 v[4:5], v[16:17], s[14:15], -v[248:249]
	s_mov_b32 s39, 0xbfd207e7
	s_mov_b32 s38, s40
	v_add_f64 v[36:37], v[4:5], v[10:11]
	v_fma_f64 v[4:5], s[18:19], v[22:23], v[0:1]
	v_mul_f64 v[8:9], v[64:65], s[38:39]
	v_add_f64 v[38:39], v[4:5], v[20:21]
	v_mul_f64 v[18:19], v[128:129], s[26:27]
	v_fma_f64 v[4:5], v[16:17], s[26:27], -v[8:9]
	v_add_f64 v[68:69], v[54:55], -v[50:51]
	v_add_f64 v[26:27], v[4:5], v[26:27]
	v_fma_f64 v[4:5], s[38:39], v[22:23], v[18:19]
	v_add_f64 v[124:125], v[52:53], v[176:177]
	v_add_f64 v[66:67], v[50:51], v[54:55]
	v_mul_f64 v[236:237], v[68:69], s[38:39]
	v_add_f64 v[72:73], v[4:5], v[28:29]
	v_add_f64 v[126:127], v[176:177], -v[52:53]
	v_mul_f64 v[244:245], v[66:67], s[26:27]
	v_fma_f64 v[4:5], v[124:125], s[26:27], -v[236:237]
	s_mov_b32 s43, 0x3fe14ced
	s_mov_b32 s42, s18
	v_add_f64 v[28:29], v[4:5], v[30:31]
	v_fma_f64 v[4:5], s[38:39], v[126:127], v[244:245]
	v_mul_f64 v[252:253], v[68:69], s[42:43]
	v_add_f64 v[30:31], v[4:5], v[24:25]
	v_mul_f64 v[4:5], v[66:67], s[14:15]
	v_fma_f64 v[10:11], v[124:125], s[14:15], -v[252:253]
	v_add_f64 v[32:33], v[10:11], v[32:33]
	v_fma_f64 v[10:11], s[42:43], v[126:127], v[4:5]
	v_add_f64 v[34:35], v[10:11], v[34:35]
	v_mul_f64 v[10:11], v[68:69], s[24:25]
	v_mul_f64 v[20:21], v[66:67], s[22:23]
	v_fma_f64 v[24:25], v[124:125], s[22:23], -v[10:11]
	v_add_f64 v[36:37], v[24:25], v[36:37]
	v_fma_f64 v[24:25], s[24:25], v[126:127], v[20:21]
	v_mul_f64 v[208:209], v[68:69], s[30:31]
	v_add_f64 v[38:39], v[24:25], v[38:39]
	v_mul_f64 v[130:131], v[66:67], s[16:17]
	v_fma_f64 v[24:25], v[124:125], s[16:17], -v[208:209]
	v_add_f64 v[24:25], v[24:25], v[26:27]
	v_fma_f64 v[26:27], s[30:31], v[126:127], v[130:131]
	v_add_f64 v[26:27], v[26:27], v[72:73]
	s_barrier
	s_and_saveexec_b64 s[0:1], s[2:3]
	s_cbranch_execz .LBB0_25
; %bb.24:
	v_mul_f64 v[72:73], v[180:181], s[14:15]
	v_accvgpr_write_b32 a68, v72
	v_accvgpr_write_b32 a69, v73
	v_mul_f64 v[72:73], v[230:231], s[18:19]
	v_accvgpr_write_b32 a72, v72
	v_accvgpr_write_b32 a73, v73
	;; [unrolled: 3-line block ×17, first 2 shown]
	v_accvgpr_write_b32 a96, v72
	v_mul_f64 v[72:73], v[254:255], s[16:17]
	v_accvgpr_write_b32 a33, v81
	v_accvgpr_write_b32 a34, v82
	;; [unrolled: 1-line block ×3, first 2 shown]
	v_mul_f64 v[80:81], v[230:231], s[24:25]
	v_accvgpr_write_b32 a105, v73
	v_mul_f64 v[230:231], v[230:231], s[38:39]
	v_accvgpr_write_b32 a93, v59
	;; [unrolled: 2-line block ×3, first 2 shown]
	v_mul_f64 v[72:73], v[206:207], s[30:31]
	v_mul_f64 v[14:15], v[14:15], s[42:43]
	v_accvgpr_write_b32 a99, v63
	v_accvgpr_write_b32 a92, v58
	v_fma_f64 v[58:59], s[26:27], v[196:197], v[230:231]
	v_accvgpr_write_b32 a111, v73
	v_mul_f64 v[132:133], v[206:207], s[18:19]
	v_mul_f64 v[206:207], v[206:207], s[24:25]
	v_accvgpr_write_b32 a98, v62
	v_fma_f64 v[62:63], s[14:15], v[246:247], v[14:15]
	v_add_f64 v[58:59], v[166:167], v[58:59]
	v_fma_f64 v[196:197], v[196:197], s[26:27], -v[230:231]
	v_accvgpr_write_b32 a110, v72
	v_mul_f64 v[72:73], v[16:17], s[22:23]
	v_mul_f64 v[78:79], v[22:23], s[30:31]
	v_add_f64 v[58:59], v[62:63], v[58:59]
	v_fma_f64 v[62:63], s[22:23], v[12:13], v[206:207]
	v_fma_f64 v[14:15], v[246:247], s[14:15], -v[14:15]
	v_add_f64 v[196:197], v[166:167], v[196:197]
	v_accvgpr_write_b32 a81, v73
	v_accvgpr_write_b32 a17, v71
	v_mul_f64 v[70:71], v[126:127], s[28:29]
	v_fma_f64 v[74:75], s[16:17], v[128:129], v[78:79]
	v_add_f64 v[58:59], v[62:63], v[58:59]
	v_fma_f64 v[12:13], v[12:13], s[22:23], -v[206:207]
	v_add_f64 v[14:15], v[14:15], v[196:197]
	v_accvgpr_write_b32 a80, v72
	v_fma_f64 v[72:73], s[20:21], v[66:67], v[70:71]
	v_add_f64 v[58:59], v[74:75], v[58:59]
	v_mul_f64 v[62:63], v[64:65], s[30:31]
	v_mul_f64 v[64:65], v[210:211], s[24:25]
	;; [unrolled: 1-line block ×3, first 2 shown]
	v_fma_f64 v[78:79], v[128:129], s[16:17], -v[78:79]
	v_add_f64 v[12:13], v[12:13], v[14:15]
	v_add_f64 v[74:75], v[72:73], v[58:59]
	v_mul_f64 v[6:7], v[6:7], s[42:43]
	v_fma_f64 v[72:73], v[180:181], s[26:27], -v[210:211]
	v_fma_f64 v[66:67], v[66:67], s[20:21], -v[70:71]
	v_add_f64 v[12:13], v[78:79], v[12:13]
	v_fmac_f64_e32 v[210:211], s[26:27], v[180:181]
	v_mul_f64 v[58:59], v[68:69], s[28:29]
	v_fma_f64 v[68:69], v[226:227], s[14:15], -v[6:7]
	v_add_f64 v[72:73], v[164:165], v[72:73]
	v_add_f64 v[14:15], v[66:67], v[12:13]
	v_fmac_f64_e32 v[6:7], s[14:15], v[226:227]
	v_add_f64 v[12:13], v[164:165], v[210:211]
	v_add_f64 v[68:69], v[68:69], v[72:73]
	v_fma_f64 v[72:73], v[254:255], s[22:23], -v[64:65]
	v_fmac_f64_e32 v[64:65], s[22:23], v[254:255]
	v_add_f64 v[6:7], v[6:7], v[12:13]
	v_add_f64 v[68:69], v[72:73], v[68:69]
	v_fma_f64 v[72:73], v[16:17], s[16:17], -v[62:63]
	;; [unrolled: 4-line block ×3, first 2 shown]
	v_fmac_f64_e32 v[58:59], s[20:21], v[124:125]
	v_add_f64 v[6:7], v[62:63], v[6:7]
	v_add_f64 v[72:73], v[72:73], v[68:69]
	v_mul_f64 v[68:69], v[22:23], s[24:25]
	v_mul_f64 v[70:71], v[22:23], s[36:37]
	v_mul_f64 v[206:207], v[22:23], s[18:19]
	v_mul_f64 v[22:23], v[22:23], s[38:39]
	v_add_f64 v[12:13], v[58:59], v[6:7]
	v_add_f64 v[58:59], v[214:215], -v[80:81]
	v_add_f64 v[18:19], v[18:19], -v[22:23]
	;; [unrolled: 1-line block ×3, first 2 shown]
	v_add_f64 v[58:59], v[166:167], v[58:59]
	v_add_f64 v[2:3], v[2:3], -v[132:133]
	v_add_f64 v[22:23], v[22:23], v[58:59]
	v_add_f64 v[2:3], v[2:3], v[22:23]
	v_accvgpr_read_b32 v22, a108
	v_mul_f64 v[222:223], v[16:17], s[20:21]
	v_mul_f64 v[128:129], v[16:17], s[14:15]
	;; [unrolled: 1-line block ×8, first 2 shown]
	v_accvgpr_read_b32 v23, a109
	v_mul_f64 v[82:83], v[226:227], s[20:21]
	v_add_f64 v[6:7], v[130:131], -v[124:125]
	v_add_f64 v[2:3], v[18:19], v[2:3]
	v_add_f64 v[22:23], v[22:23], v[200:201]
	v_mul_f64 v[86:87], v[254:255], s[14:15]
	v_add_f64 v[18:19], v[6:7], v[2:3]
	v_add_f64 v[2:3], v[16:17], v[208:209]
	;; [unrolled: 1-line block ×8, first 2 shown]
	v_mul_f64 v[254:255], v[126:127], s[24:25]
	v_add_f64 v[6:7], v[6:7], v[8:9]
	v_add_f64 v[16:17], v[2:3], v[6:7]
	v_add_f64 v[2:3], v[20:21], -v[254:255]
	v_accvgpr_read_b32 v20, a102
	v_accvgpr_read_b32 v8, a106
	;; [unrolled: 1-line block ×5, first 2 shown]
	v_add_f64 v[20:21], v[190:191], -v[20:21]
	v_accvgpr_read_b32 v7, a111
	v_add_f64 v[8:9], v[218:219], -v[8:9]
	v_add_f64 v[20:21], v[166:167], v[20:21]
	v_add_f64 v[6:7], v[242:243], -v[6:7]
	v_add_f64 v[8:9], v[8:9], v[20:21]
	;; [unrolled: 2-line block ×3, first 2 shown]
	v_add_f64 v[0:1], v[0:1], v[6:7]
	v_accvgpr_read_b32 v20, a94
	v_add_f64 v[2:3], v[2:3], v[0:1]
	v_add_f64 v[0:1], v[134:135], v[10:11]
	v_accvgpr_read_b32 v10, a100
	v_accvgpr_read_b32 v21, a95
	;; [unrolled: 1-line block ×4, first 2 shown]
	v_add_f64 v[20:21], v[20:21], v[170:171]
	v_accvgpr_read_b32 v9, a105
	v_add_f64 v[10:11], v[10:11], v[202:203]
	v_add_f64 v[20:21], v[164:165], v[20:21]
	;; [unrolled: 1-line block ×4, first 2 shown]
	v_accvgpr_read_b32 v20, a86
	v_add_f64 v[6:7], v[128:129], v[248:249]
	v_add_f64 v[8:9], v[8:9], v[10:11]
	v_accvgpr_read_b32 v10, a90
	v_accvgpr_read_b32 v21, a87
	v_add_f64 v[6:7], v[6:7], v[8:9]
	v_accvgpr_read_b32 v8, a96
	v_accvgpr_read_b32 v11, a91
	v_add_f64 v[20:21], v[154:155], -v[20:21]
	v_accvgpr_read_b32 v9, a97
	v_add_f64 v[10:11], v[194:195], -v[10:11]
	v_add_f64 v[20:21], v[166:167], v[20:21]
	v_accvgpr_read_b32 v22, a78
	v_add_f64 v[8:9], v[220:221], -v[8:9]
	v_add_f64 v[10:11], v[10:11], v[20:21]
	v_accvgpr_read_b32 v20, a84
	v_accvgpr_read_b32 v23, a79
	v_add_f64 v[8:9], v[8:9], v[10:11]
	v_accvgpr_read_b32 v10, a88
	v_accvgpr_read_b32 v21, a85
	v_add_f64 v[22:23], v[22:23], v[84:85]
	v_accvgpr_read_b32 v11, a89
	v_add_f64 v[20:21], v[20:21], v[182:183]
	v_add_f64 v[22:23], v[164:165], v[22:23]
	v_accvgpr_read_b32 v58, a72
	v_accvgpr_read_b32 v62, a98
	v_add_f64 v[10:11], v[10:11], v[212:213]
	v_add_f64 v[20:21], v[20:21], v[22:23]
	v_accvgpr_read_b32 v22, a76
	v_accvgpr_read_b32 v59, a73
	;; [unrolled: 1-line block ×3, first 2 shown]
	v_add_f64 v[10:11], v[10:11], v[20:21]
	v_accvgpr_read_b32 v20, a82
	v_accvgpr_read_b32 v23, a77
	v_add_f64 v[58:59], v[62:63], -v[58:59]
	v_add_f64 v[0:1], v[0:1], v[6:7]
	v_add_f64 v[6:7], v[240:241], -v[70:71]
	v_accvgpr_read_b32 v21, a83
	v_add_f64 v[22:23], v[158:159], -v[22:23]
	v_add_f64 v[58:59], v[166:167], v[58:59]
	v_accvgpr_read_b32 v62, a68
	v_accvgpr_read_b32 v64, a92
	v_add_f64 v[6:7], v[6:7], v[8:9]
	v_add_f64 v[8:9], v[222:223], v[232:233]
	v_add_f64 v[20:21], v[198:199], -v[20:21]
	v_add_f64 v[22:23], v[22:23], v[58:59]
	v_accvgpr_read_b32 v58, a70
	v_accvgpr_read_b32 v63, a69
	;; [unrolled: 1-line block ×3, first 2 shown]
	v_mul_f64 v[78:79], v[126:127], s[42:43]
	v_add_f64 v[8:9], v[8:9], v[10:11]
	v_add_f64 v[10:11], v[224:225], -v[68:69]
	v_add_f64 v[20:21], v[20:21], v[22:23]
	v_accvgpr_read_b32 v22, a74
	v_accvgpr_read_b32 v59, a71
	v_add_f64 v[62:63], v[62:63], v[64:65]
	v_add_f64 v[4:5], v[4:5], -v[78:79]
	v_add_f64 v[10:11], v[10:11], v[20:21]
	v_accvgpr_read_b32 v20, a80
	v_accvgpr_read_b32 v23, a75
	v_add_f64 v[58:59], v[58:59], v[156:157]
	v_add_f64 v[62:63], v[164:165], v[62:63]
	v_mul_f64 v[196:197], v[126:127], s[38:39]
	v_add_f64 v[6:7], v[4:5], v[6:7]
	v_add_f64 v[4:5], v[152:153], v[252:253]
	v_accvgpr_read_b32 v21, a81
	v_add_f64 v[22:23], v[22:23], v[192:193]
	v_add_f64 v[58:59], v[58:59], v[62:63]
	;; [unrolled: 1-line block ×3, first 2 shown]
	v_add_f64 v[8:9], v[244:245], -v[196:197]
	v_add_f64 v[20:21], v[20:21], v[216:217]
	v_add_f64 v[22:23], v[22:23], v[58:59]
	;; [unrolled: 1-line block ×24, first 2 shown]
	v_accvgpr_read_b32 v83, a35
	v_add_f64 v[20:21], v[40:41], v[20:21]
	v_accvgpr_read_b32 v40, a3
	v_accvgpr_read_b32 v41, a31
	;; [unrolled: 1-line block ×7, first 2 shown]
	v_add_f64 v[20:21], v[42:43], v[20:21]
	v_add_lshl_u32 v40, v41, v40, 4
	ds_write_b128 v40, v[20:23]
	ds_write_b128 v40, v[8:11] offset:48
	ds_write_b128 v40, v[4:7] offset:96
	;; [unrolled: 1-line block ×10, first 2 shown]
.LBB0_25:
	s_or_b64 exec, exec, s[0:1]
	s_waitcnt lgkmcnt(0)
	s_barrier
	ds_read_b128 v[40:43], v204
	ds_read_b128 v[152:155], v204 offset:4224
	ds_read_b128 v[60:63], v204 offset:8448
	;; [unrolled: 1-line block ×6, first 2 shown]
	s_and_saveexec_b64 s[0:1], s[4:5]
	s_cbranch_execz .LBB0_27
; %bb.26:
	ds_read_b128 v[24:27], v204 offset:3696
	ds_read_b128 v[36:39], v204 offset:7920
	;; [unrolled: 1-line block ×7, first 2 shown]
.LBB0_27:
	s_or_b64 exec, exec, s[0:1]
	s_waitcnt lgkmcnt(5)
	v_mul_f64 v[0:1], v[102:103], v[154:155]
	s_waitcnt lgkmcnt(4)
	v_mul_f64 v[4:5], v[94:95], v[62:63]
	;; [unrolled: 2-line block ×4, first 2 shown]
	v_fmac_f64_e32 v[0:1], v[100:101], v[152:153]
	v_mul_f64 v[2:3], v[102:103], v[152:153]
	v_fmac_f64_e32 v[4:5], v[92:93], v[60:61]
	v_mul_f64 v[6:7], v[94:95], v[60:61]
	v_mul_f64 v[8:9], v[98:99], v[58:59]
	;; [unrolled: 1-line block ×3, first 2 shown]
	v_fmac_f64_e32 v[16:17], v[108:109], v[48:49]
	v_mul_f64 v[18:19], v[110:111], v[48:49]
	v_fmac_f64_e32 v[20:21], v[104:105], v[44:45]
	v_mul_f64 v[22:23], v[106:107], v[44:45]
	v_fma_f64 v[2:3], v[100:101], v[154:155], -v[2:3]
	v_fma_f64 v[6:7], v[92:93], v[62:63], -v[6:7]
	v_fmac_f64_e32 v[8:9], v[96:97], v[56:57]
	v_mul_f64 v[10:11], v[98:99], v[56:57]
	v_fmac_f64_e32 v[12:13], v[88:89], v[52:53]
	v_mul_f64 v[14:15], v[90:91], v[52:53]
	v_fma_f64 v[18:19], v[108:109], v[50:51], -v[18:19]
	v_fma_f64 v[22:23], v[104:105], v[46:47], -v[22:23]
	v_add_f64 v[44:45], v[0:1], v[20:21]
	v_add_f64 v[0:1], v[0:1], -v[20:21]
	v_add_f64 v[20:21], v[4:5], v[16:17]
	v_fma_f64 v[10:11], v[96:97], v[58:59], -v[10:11]
	v_fma_f64 v[14:15], v[88:89], v[54:55], -v[14:15]
	v_add_f64 v[46:47], v[2:3], v[22:23]
	v_add_f64 v[2:3], v[2:3], -v[22:23]
	v_add_f64 v[22:23], v[6:7], v[18:19]
	v_add_f64 v[4:5], v[4:5], -v[16:17]
	;; [unrolled: 2-line block ×5, first 2 shown]
	v_add_f64 v[14:15], v[22:23], v[46:47]
	v_add_f64 v[52:53], v[8:9], v[4:5]
	;; [unrolled: 1-line block ×3, first 2 shown]
	v_add_f64 v[48:49], v[20:21], -v[44:45]
	v_add_f64 v[44:45], v[44:45], -v[16:17]
	;; [unrolled: 1-line block ×3, first 2 shown]
	v_add_f64 v[54:55], v[10:11], v[6:7]
	v_add_f64 v[56:57], v[8:9], -v[4:5]
	v_add_f64 v[8:9], v[0:1], -v[8:9]
	v_add_f64 v[4:5], v[4:5], -v[0:1]
	v_add_f64 v[14:15], v[18:19], v[14:15]
	v_add_f64 v[16:17], v[52:53], v[0:1]
	;; [unrolled: 1-line block ×3, first 2 shown]
	s_mov_b32 s14, 0x37e14327
	s_mov_b32 s16, 0x36b3c0b5
	;; [unrolled: 1-line block ×5, first 2 shown]
	v_add_f64 v[50:51], v[22:23], -v[46:47]
	v_add_f64 v[46:47], v[46:47], -v[18:19]
	;; [unrolled: 1-line block ×6, first 2 shown]
	v_add_f64 v[18:19], v[54:55], v[2:3]
	v_add_f64 v[2:3], v[42:43], v[14:15]
	s_mov_b32 s15, 0x3fe948f6
	s_mov_b32 s17, 0x3fac98ee
	;; [unrolled: 1-line block ×5, first 2 shown]
	v_mov_b64_e32 v[60:61], v[0:1]
	s_mov_b32 s2, 0x5476071b
	s_mov_b32 s28, 0xb247c609
	v_mul_f64 v[40:41], v[44:45], s[14:15]
	v_mul_f64 v[42:43], v[46:47], s[14:15]
	;; [unrolled: 1-line block ×8, first 2 shown]
	v_fmac_f64_e32 v[60:61], s[26:27], v[12:13]
	v_mov_b64_e32 v[12:13], v[2:3]
	s_mov_b32 s3, 0x3fe77f67
	s_mov_b32 s21, 0xbfe77f67
	;; [unrolled: 1-line block ×7, first 2 shown]
	v_fmac_f64_e32 v[12:13], s[26:27], v[14:15]
	v_fma_f64 v[14:15], v[48:49], s[2:3], -v[44:45]
	v_fma_f64 v[44:45], v[50:51], s[2:3], -v[46:47]
	;; [unrolled: 1-line block ×3, first 2 shown]
	v_fmac_f64_e32 v[40:41], s[16:17], v[20:21]
	v_fma_f64 v[20:21], v[50:51], s[20:21], -v[42:43]
	v_fmac_f64_e32 v[42:43], s[16:17], v[22:23]
	v_fma_f64 v[22:23], v[4:5], s[0:1], -v[52:53]
	;; [unrolled: 2-line block ×4, first 2 shown]
	v_fma_f64 v[56:57], v[10:11], s[24:25], -v[58:59]
	s_mov_b32 s23, 0xbfdc38aa
	v_add_f64 v[40:41], v[40:41], v[60:61]
	v_add_f64 v[42:43], v[42:43], v[12:13]
	;; [unrolled: 1-line block ×6, first 2 shown]
	v_fmac_f64_e32 v[52:53], s[22:23], v[16:17]
	v_fmac_f64_e32 v[54:55], s[22:23], v[18:19]
	v_fmac_f64_e32 v[22:23], s[22:23], v[16:17]
	v_fmac_f64_e32 v[48:49], s[22:23], v[18:19]
	v_fmac_f64_e32 v[50:51], s[22:23], v[16:17]
	v_fmac_f64_e32 v[56:57], s[22:23], v[18:19]
	v_add_f64 v[4:5], v[54:55], v[40:41]
	v_add_f64 v[6:7], v[42:43], -v[52:53]
	v_add_f64 v[8:9], v[56:57], v[46:47]
	v_add_f64 v[10:11], v[60:61], -v[50:51]
	v_add_f64 v[12:13], v[58:59], -v[48:49]
	v_add_f64 v[14:15], v[22:23], v[44:45]
	v_add_f64 v[16:17], v[48:49], v[58:59]
	v_add_f64 v[18:19], v[44:45], -v[22:23]
	v_add_f64 v[20:21], v[46:47], -v[56:57]
	v_add_f64 v[22:23], v[50:51], v[60:61]
	v_add_f64 v[40:41], v[40:41], -v[54:55]
	v_add_f64 v[42:43], v[52:53], v[42:43]
	s_barrier
	ds_write_b128 v205, v[0:3]
	ds_write_b128 v205, v[4:7] offset:528
	ds_write_b128 v205, v[8:11] offset:1056
	;; [unrolled: 1-line block ×6, first 2 shown]
	s_and_saveexec_b64 s[30:31], s[4:5]
	s_cbranch_execz .LBB0_29
; %bb.28:
	v_accvgpr_read_b32 v59, a47
	v_accvgpr_read_b32 v44, a52
	;; [unrolled: 1-line block ×19, first 2 shown]
	v_mul_f64 v[0:1], v[58:59], v[38:39]
	v_accvgpr_read_b32 v45, a53
	v_accvgpr_read_b32 v77, a65
	;; [unrolled: 1-line block ×3, first 2 shown]
	v_mul_f64 v[4:5], v[46:47], v[78:79]
	v_accvgpr_read_b32 v65, a57
	v_accvgpr_read_b32 v64, a56
	v_mul_f64 v[10:11], v[82:83], v[66:67]
	v_accvgpr_read_b32 v49, a37
	v_accvgpr_read_b32 v48, a36
	;; [unrolled: 3-line block ×4, first 2 shown]
	v_accvgpr_read_b32 v73, a61
	v_accvgpr_read_b32 v72, a60
	v_mul_f64 v[18:19], v[62:63], v[74:75]
	v_fmac_f64_e32 v[0:1], v[56:57], v[36:37]
	v_fmac_f64_e32 v[4:5], v[44:45], v[76:77]
	;; [unrolled: 1-line block ×6, first 2 shown]
	v_add_f64 v[8:9], v[0:1], -v[4:5]
	v_add_f64 v[2:3], v[10:11], -v[12:13]
	;; [unrolled: 1-line block ×5, first 2 shown]
	v_add_f64 v[2:3], v[2:3], v[20:21]
	v_add_f64 v[42:43], v[2:3], v[8:9]
	v_mul_f64 v[2:3], v[46:47], v[76:77]
	v_fma_f64 v[44:45], v[44:45], v[78:79], -v[2:3]
	v_mul_f64 v[2:3], v[58:59], v[36:37]
	v_fma_f64 v[36:37], v[56:57], v[38:39], -v[2:3]
	v_mul_f64 v[2:3], v[62:63], v[72:73]
	v_mul_f64 v[22:23], v[6:7], s[18:19]
	v_fma_f64 v[46:47], v[60:61], v[74:75], -v[2:3]
	v_mul_f64 v[2:3], v[54:55], v[32:33]
	v_mul_f64 v[6:7], v[50:51], v[28:29]
	v_fma_f64 v[32:33], v[52:53], v[34:35], -v[2:3]
	v_fma_f64 v[28:29], v[48:49], v[30:31], -v[6:7]
	v_mul_f64 v[6:7], v[82:83], v[64:65]
	v_add_f64 v[54:55], v[0:1], v[4:5]
	v_add_f64 v[16:17], v[16:17], v[18:19]
	;; [unrolled: 1-line block ×4, first 2 shown]
	v_fma_f64 v[30:31], v[80:81], v[66:67], -v[6:7]
	v_add_f64 v[0:1], v[16:17], v[54:55]
	v_add_f64 v[4:5], v[12:13], v[10:11]
	;; [unrolled: 1-line block ×8, first 2 shown]
	v_mov_b64_e32 v[12:13], v[0:1]
	v_mov_b64_e32 v[26:27], v[2:3]
	v_fmac_f64_e32 v[12:13], s[26:27], v[10:11]
	v_add_f64 v[10:11], v[54:55], -v[4:5]
	v_add_f64 v[20:21], v[20:21], -v[8:9]
	v_fmac_f64_e32 v[26:27], s[26:27], v[48:49]
	v_add_f64 v[48:49], v[38:39], -v[6:7]
	v_mul_f64 v[18:19], v[10:11], s[14:15]
	v_add_f64 v[4:5], v[4:5], -v[16:17]
	v_mul_f64 v[8:9], v[20:21], s[0:1]
	v_fma_f64 v[40:41], s[28:29], v[14:15], v[22:23]
	v_mul_f64 v[48:49], v[48:49], s[14:15]
	v_mul_f64 v[24:25], v[4:5], s[16:17]
	v_fma_f64 v[4:5], s[16:17], v[4:5], v[18:19]
	v_fma_f64 v[58:59], v[14:15], s[24:25], -v[8:9]
	v_add_f64 v[14:15], v[34:35], -v[38:39]
	v_add_f64 v[56:57], v[4:5], v[12:13]
	v_add_f64 v[36:37], v[36:37], -v[44:45]
	v_add_f64 v[4:5], v[30:31], -v[28:29]
	;; [unrolled: 1-line block ×3, first 2 shown]
	v_fma_f64 v[8:9], v[14:15], s[20:21], -v[48:49]
	v_add_f64 v[16:17], v[16:17], -v[54:55]
	v_add_f64 v[6:7], v[6:7], -v[34:35]
	;; [unrolled: 1-line block ×3, first 2 shown]
	v_add_f64 v[34:35], v[8:9], v[26:27]
	v_fma_f64 v[8:9], v[16:17], s[20:21], -v[18:19]
	v_add_f64 v[18:19], v[30:31], -v[36:37]
	v_mul_f64 v[50:51], v[6:7], s[16:17]
	v_add_f64 v[28:29], v[36:37], -v[4:5]
	v_mul_f64 v[32:33], v[10:11], s[18:19]
	v_add_f64 v[4:5], v[4:5], v[30:31]
	v_add_f64 v[38:39], v[8:9], v[12:13]
	v_mul_f64 v[8:9], v[18:19], s[0:1]
	v_fma_f64 v[6:7], s[16:17], v[6:7], v[48:49]
	v_fma_f64 v[44:45], s[28:29], v[28:29], v[32:33]
	v_add_f64 v[46:47], v[4:5], v[36:37]
	v_fma_f64 v[28:29], v[28:29], s[24:25], -v[8:9]
	v_fma_f64 v[14:15], v[14:15], s[2:3], -v[50:51]
	;; [unrolled: 1-line block ×5, first 2 shown]
	v_fmac_f64_e32 v[40:41], s[22:23], v[42:43]
	v_add_f64 v[52:53], v[6:7], v[26:27]
	v_fmac_f64_e32 v[44:45], s[22:23], v[46:47]
	v_fmac_f64_e32 v[58:59], s[22:23], v[42:43]
	;; [unrolled: 1-line block ×3, first 2 shown]
	v_add_f64 v[26:27], v[14:15], v[26:27]
	v_fmac_f64_e32 v[20:21], s[22:23], v[42:43]
	v_add_f64 v[16:17], v[16:17], v[12:13]
	v_fmac_f64_e32 v[22:23], s[22:23], v[46:47]
	v_add_f64 v[6:7], v[40:41], v[52:53]
	v_add_f64 v[4:5], v[56:57], -v[44:45]
	v_add_f64 v[10:11], v[58:59], v[34:35]
	v_add_f64 v[8:9], v[38:39], -v[28:29]
	v_add_f64 v[14:15], v[26:27], -v[20:21]
	v_add_f64 v[12:13], v[22:23], v[16:17]
	v_add_f64 v[18:19], v[20:21], v[26:27]
	v_add_f64 v[16:17], v[16:17], -v[22:23]
	v_add_f64 v[22:23], v[34:35], -v[58:59]
	v_add_f64 v[20:21], v[28:29], v[38:39]
	v_add_f64 v[26:27], v[52:53], -v[40:41]
	v_add_f64 v[24:25], v[44:45], v[56:57]
	ds_write_b128 v71, v[0:3] offset:25872
	ds_write_b128 v71, v[24:27] offset:26400
	;; [unrolled: 1-line block ×7, first 2 shown]
.LBB0_29:
	s_or_b64 exec, exec, s[30:31]
	s_waitcnt lgkmcnt(0)
	s_barrier
	ds_read_b128 v[0:3], v204
	ds_read_b128 v[4:7], v204 offset:3696
	ds_read_b128 v[8:11], v204 offset:7392
	;; [unrolled: 1-line block ×7, first 2 shown]
	s_waitcnt lgkmcnt(5)
	v_mul_f64 v[38:39], v[122:123], v[10:11]
	v_fmac_f64_e32 v[38:39], v[120:121], v[8:9]
	v_mul_f64 v[8:9], v[122:123], v[8:9]
	v_fma_f64 v[8:9], v[120:121], v[10:11], -v[8:9]
	s_waitcnt lgkmcnt(3)
	v_mul_f64 v[10:11], v[118:119], v[18:19]
	v_fmac_f64_e32 v[10:11], v[116:117], v[16:17]
	v_mul_f64 v[16:17], v[118:119], v[16:17]
	v_fma_f64 v[16:17], v[116:117], v[18:19], -v[16:17]
	;; [unrolled: 5-line block ×3, first 2 shown]
	v_mul_f64 v[32:33], v[122:123], v[14:15]
	v_fmac_f64_e32 v[32:33], v[120:121], v[12:13]
	v_mul_f64 v[12:13], v[122:123], v[12:13]
	v_fma_f64 v[40:41], v[120:121], v[14:15], -v[12:13]
	v_mul_f64 v[42:43], v[118:119], v[22:23]
	v_mul_f64 v[12:13], v[118:119], v[20:21]
	v_fmac_f64_e32 v[42:43], v[116:117], v[20:21]
	v_fma_f64 v[20:21], v[116:117], v[22:23], -v[12:13]
	s_waitcnt lgkmcnt(0)
	v_mul_f64 v[22:23], v[114:115], v[36:37]
	v_mul_f64 v[12:13], v[114:115], v[34:35]
	v_fmac_f64_e32 v[22:23], v[112:113], v[34:35]
	v_fma_f64 v[34:35], v[112:113], v[36:37], -v[12:13]
	v_add_f64 v[36:37], v[0:1], -v[10:11]
	v_add_f64 v[44:45], v[2:3], -v[16:17]
	;; [unrolled: 1-line block ×4, first 2 shown]
	v_fma_f64 v[10:11], v[0:1], 2.0, -v[36:37]
	v_fma_f64 v[12:13], v[2:3], 2.0, -v[44:45]
	;; [unrolled: 1-line block ×4, first 2 shown]
	v_add_f64 v[0:1], v[10:11], -v[0:1]
	v_add_f64 v[2:3], v[12:13], -v[2:3]
	v_fma_f64 v[8:9], v[10:11], 2.0, -v[0:1]
	v_fma_f64 v[10:11], v[12:13], 2.0, -v[2:3]
	v_add_f64 v[12:13], v[36:37], v[16:17]
	v_add_f64 v[38:39], v[6:7], -v[20:21]
	v_add_f64 v[34:35], v[40:41], -v[34:35]
	v_fma_f64 v[16:17], v[36:37], 2.0, -v[12:13]
	v_add_f64 v[36:37], v[4:5], -v[42:43]
	v_fma_f64 v[30:31], v[6:7], 2.0, -v[38:39]
	;; [unrolled: 2-line block ×3, first 2 shown]
	v_fma_f64 v[20:21], v[4:5], 2.0, -v[36:37]
	v_fma_f64 v[4:5], v[32:33], 2.0, -v[42:43]
	v_add_f64 v[6:7], v[30:31], -v[6:7]
	v_add_f64 v[14:15], v[44:45], -v[14:15]
	;; [unrolled: 1-line block ×3, first 2 shown]
	v_fma_f64 v[22:23], v[30:31], 2.0, -v[6:7]
	v_add_f64 v[30:31], v[36:37], v[34:35]
	v_add_f64 v[32:33], v[38:39], -v[42:43]
	v_fma_f64 v[18:19], v[44:45], 2.0, -v[14:15]
	v_fma_f64 v[20:21], v[20:21], 2.0, -v[4:5]
	;; [unrolled: 1-line block ×4, first 2 shown]
	s_barrier
	ds_write_b128 v204, v[8:11]
	ds_write_b128 v204, v[16:19] offset:3696
	ds_write_b128 v204, v[0:3] offset:7392
	ds_write_b128 v204, v[12:15] offset:11088
	ds_write_b128 v204, v[20:23] offset:14784
	ds_write_b128 v204, v[34:37] offset:18480
	ds_write_b128 v204, v[4:7] offset:22176
	ds_write_b128 v204, v[30:33] offset:25872
	s_waitcnt lgkmcnt(0)
	s_barrier
	ds_read_b128 v[0:3], v204
	ds_read_b128 v[4:7], v204 offset:3696
	ds_read_b128 v[8:11], v204 offset:14784
	;; [unrolled: 1-line block ×7, first 2 shown]
	s_waitcnt lgkmcnt(5)
	v_mul_f64 v[38:39], v[142:143], v[10:11]
	v_fmac_f64_e32 v[38:39], v[140:141], v[8:9]
	v_mul_f64 v[8:9], v[142:143], v[8:9]
	v_fma_f64 v[10:11], v[140:141], v[10:11], -v[8:9]
	s_waitcnt lgkmcnt(4)
	v_mul_f64 v[8:9], v[138:139], v[12:13]
	v_mul_f64 v[40:41], v[138:139], v[14:15]
	v_fma_f64 v[14:15], v[136:137], v[14:15], -v[8:9]
	s_waitcnt lgkmcnt(1)
	v_mul_f64 v[8:9], v[146:147], v[30:31]
	;; [unrolled: 4-line block ×3, first 2 shown]
	v_mul_f64 v[8:9], v[150:151], v[34:35]
	v_fmac_f64_e32 v[40:41], v[136:137], v[12:13]
	v_fmac_f64_e32 v[42:43], v[144:145], v[30:31]
	;; [unrolled: 1-line block ×3, first 2 shown]
	v_fma_f64 v[36:37], v[148:149], v[36:37], -v[8:9]
	v_add_f64 v[8:9], v[0:1], -v[38:39]
	v_add_f64 v[10:11], v[2:3], -v[10:11]
	v_fma_f64 v[0:1], v[0:1], 2.0, -v[8:9]
	v_fma_f64 v[2:3], v[2:3], 2.0, -v[10:11]
	v_add_f64 v[12:13], v[4:5], -v[40:41]
	v_add_f64 v[14:15], v[6:7], -v[14:15]
	;; [unrolled: 1-line block ×6, first 2 shown]
	v_fma_f64 v[4:5], v[4:5], 2.0, -v[12:13]
	v_fma_f64 v[6:7], v[6:7], 2.0, -v[14:15]
	;; [unrolled: 1-line block ×6, first 2 shown]
	ds_write_b128 v204, v[0:3]
	ds_write_b128 v204, v[8:11] offset:14784
	ds_write_b128 v204, v[4:7] offset:3696
	ds_write_b128 v204, v[12:15] offset:18480
	ds_write_b128 v204, v[16:19] offset:7392
	ds_write_b128 v204, v[30:33] offset:22176
	ds_write_b128 v204, v[20:23] offset:11088
	ds_write_b128 v204, v[34:37] offset:25872
	s_waitcnt lgkmcnt(0)
	s_barrier
	ds_read_b128 v[0:3], v204
	v_accvgpr_read_b32 v46, a16
	v_mad_u64_u32 v[26:27], s[0:1], s10, v46, 0
	v_mov_b32_e32 v28, v27
	v_accvgpr_read_b32 v10, a26
	v_mad_u64_u32 v[4:5], s[0:1], s11, v46, v[28:29]
	v_accvgpr_read_b32 v12, a28
	v_accvgpr_read_b32 v13, a29
	v_mov_b32_e32 v27, v4
	ds_read_b128 v[4:7], v204 offset:3696
	v_accvgpr_read_b32 v11, a27
	s_waitcnt lgkmcnt(1)
	v_mul_f64 v[8:9], v[12:13], v[2:3]
	v_fmac_f64_e32 v[8:9], v[10:11], v[0:1]
	s_mov_b32 s0, 0x4046ed29
	v_mul_f64 v[0:1], v[12:13], v[0:1]
	s_mov_b32 s1, 0x3f41bb4a
	v_fma_f64 v[0:1], v[10:11], v[2:3], -v[0:1]
	v_mad_u64_u32 v[12:13], s[2:3], s8, v132, 0
	v_mul_f64 v[10:11], v[0:1], s[0:1]
	v_mov_b32_e32 v0, v13
	v_mad_u64_u32 v[0:1], s[2:3], s9, v132, v[0:1]
	v_mov_b32_e32 v13, v0
	ds_read_b128 v[0:3], v204 offset:9856
	v_mov_b32_e32 v24, s12
	v_mov_b32_e32 v25, s13
	v_lshl_add_u64 v[14:15], v[26:27], 4, v[24:25]
	v_accvgpr_read_b32 v21, a7
	v_mul_f64 v[8:9], v[8:9], s[0:1]
	v_lshl_add_u64 v[16:17], v[12:13], 4, v[14:15]
	v_accvgpr_read_b32 v20, a6
	global_store_dwordx4 v[16:17], v[8:11], off
	ds_read_b128 v[8:11], v204 offset:13552
	v_accvgpr_read_b32 v19, a5
	v_accvgpr_read_b32 v18, a4
	s_waitcnt lgkmcnt(1)
	v_mul_f64 v[12:13], v[20:21], v[2:3]
	v_fmac_f64_e32 v[12:13], v[18:19], v[0:1]
	v_mul_f64 v[0:1], v[20:21], v[0:1]
	v_fma_f64 v[0:1], v[18:19], v[2:3], -v[0:1]
	v_mul_f64 v[14:15], v[0:1], s[0:1]
	ds_read_b128 v[0:3], v204 offset:19712
	s_mul_i32 s2, s9, 0x268
	s_mul_hi_u32 s3, s8, 0x268
	s_add_i32 s3, s3, s2
	s_mul_i32 s2, s8, 0x268
	s_lshl_b64 s[2:3], s[2:3], 4
	v_accvgpr_read_b32 v25, a11
	v_mul_f64 v[12:13], v[12:13], s[0:1]
	v_lshl_add_u64 v[20:21], v[16:17], 0, s[2:3]
	v_accvgpr_read_b32 v24, a10
	global_store_dwordx4 v[20:21], v[12:15], off
	ds_read_b128 v[12:15], v204 offset:23408
	v_accvgpr_read_b32 v23, a9
	v_accvgpr_read_b32 v22, a8
	s_waitcnt lgkmcnt(1)
	v_mul_f64 v[16:17], v[24:25], v[2:3]
	v_fmac_f64_e32 v[16:17], v[22:23], v[0:1]
	v_mul_f64 v[0:1], v[24:25], v[0:1]
	v_fma_f64 v[0:1], v[22:23], v[2:3], -v[0:1]
	v_mul_f64 v[16:17], v[16:17], s[0:1]
	v_mul_f64 v[18:19], v[0:1], s[0:1]
	v_lshl_add_u64 v[20:21], v[20:21], 0, s[2:3]
	global_store_dwordx4 v[20:21], v[16:19], off
	s_mul_hi_u32 s5, s8, 0xfffffc17
	s_mul_i32 s4, s9, 0xfffffc17
	v_accvgpr_read_b32 v19, a15
	v_accvgpr_read_b32 v18, a14
	;; [unrolled: 1-line block ×4, first 2 shown]
	v_mul_f64 v[0:1], v[18:19], v[6:7]
	v_mul_f64 v[2:3], v[18:19], v[4:5]
	s_sub_i32 s5, s5, s8
	v_fmac_f64_e32 v[0:1], v[16:17], v[4:5]
	v_fma_f64 v[2:3], v[16:17], v[6:7], -v[2:3]
	s_add_i32 s5, s5, s4
	s_mul_i32 s4, s8, 0xfffffc17
	v_accvgpr_read_b32 v16, a18
	v_mul_f64 v[0:1], v[0:1], s[0:1]
	v_mul_f64 v[2:3], v[2:3], s[0:1]
	v_lshl_add_u64 v[4:5], s[4:5], 4, v[20:21]
	v_accvgpr_read_b32 v18, a20
	v_accvgpr_read_b32 v19, a21
	global_store_dwordx4 v[4:5], v[0:3], off
	v_accvgpr_read_b32 v17, a19
	v_lshl_add_u64 v[6:7], v[4:5], 0, s[2:3]
	v_mul_f64 v[0:1], v[18:19], v[10:11]
	v_mul_f64 v[2:3], v[18:19], v[8:9]
	v_fmac_f64_e32 v[0:1], v[16:17], v[8:9]
	v_fma_f64 v[2:3], v[16:17], v[10:11], -v[2:3]
	v_accvgpr_read_b32 v8, a22
	v_mul_f64 v[0:1], v[0:1], s[0:1]
	v_mul_f64 v[2:3], v[2:3], s[0:1]
	v_accvgpr_read_b32 v10, a24
	v_accvgpr_read_b32 v11, a25
	global_store_dwordx4 v[6:7], v[0:3], off
	v_accvgpr_read_b32 v9, a23
	s_waitcnt lgkmcnt(0)
	v_mul_f64 v[0:1], v[10:11], v[14:15]
	v_fmac_f64_e32 v[0:1], v[8:9], v[12:13]
	v_mul_f64 v[2:3], v[0:1], s[0:1]
	v_mul_f64 v[0:1], v[10:11], v[12:13]
	v_fma_f64 v[0:1], v[8:9], v[14:15], -v[0:1]
	v_mul_f64 v[4:5], v[0:1], s[0:1]
	v_lshl_add_u64 v[0:1], v[6:7], 0, s[2:3]
	global_store_dwordx4 v[0:1], v[2:5], off
	s_and_b64 exec, exec, s[6:7]
	s_cbranch_execz .LBB0_31
; %bb.30:
	v_accvgpr_read_b32 v15, a1
	v_accvgpr_read_b32 v14, a0
	v_add_co_u32_e32 v10, vcc, 0x1000, v14
	s_movk_i32 s6, 0x4000
	s_nop 0
	v_addc_co_u32_e32 v11, vcc, 0, v15, vcc
	v_add_co_u32_e32 v12, vcc, s6, v14
	s_movk_i32 s6, 0x6000
	s_nop 0
	v_addc_co_u32_e32 v13, vcc, 0, v15, vcc
	global_load_dwordx4 v[2:5], v[10:11], off offset:3296
	global_load_dwordx4 v[6:9], v[12:13], off offset:864
	v_add_co_u32_e32 v10, vcc, s6, v14
	v_lshl_add_u64 v[26:27], s[4:5], 4, v[0:1]
	s_nop 0
	v_addc_co_u32_e32 v11, vcc, 0, v15, vcc
	global_load_dwordx4 v[10:13], v[10:11], off offset:2528
	ds_read_b128 v[14:17], v204 offset:7392
	ds_read_b128 v[18:21], v204 offset:17248
	;; [unrolled: 1-line block ×3, first 2 shown]
	v_lshl_add_u64 v[28:29], v[26:27], 0, s[2:3]
	v_lshl_add_u64 v[30:31], v[28:29], 0, s[2:3]
	s_waitcnt vmcnt(2) lgkmcnt(2)
	v_mul_f64 v[0:1], v[16:17], v[4:5]
	v_mul_f64 v[4:5], v[14:15], v[4:5]
	s_waitcnt vmcnt(1) lgkmcnt(1)
	v_mul_f64 v[32:33], v[20:21], v[8:9]
	v_mul_f64 v[8:9], v[18:19], v[8:9]
	v_fmac_f64_e32 v[0:1], v[14:15], v[2:3]
	v_fma_f64 v[2:3], v[2:3], v[16:17], -v[4:5]
	v_fmac_f64_e32 v[32:33], v[18:19], v[6:7]
	s_waitcnt vmcnt(0) lgkmcnt(0)
	v_mul_f64 v[34:35], v[24:25], v[12:13]
	v_mul_f64 v[12:13], v[22:23], v[12:13]
	v_fma_f64 v[6:7], v[6:7], v[20:21], -v[8:9]
	v_fmac_f64_e32 v[34:35], v[22:23], v[10:11]
	v_fma_f64 v[10:11], v[10:11], v[24:25], -v[12:13]
	v_mul_f64 v[0:1], v[0:1], s[0:1]
	v_mul_f64 v[2:3], v[2:3], s[0:1]
	;; [unrolled: 1-line block ×6, first 2 shown]
	global_store_dwordx4 v[26:27], v[0:3], off
	global_store_dwordx4 v[28:29], v[4:7], off
	;; [unrolled: 1-line block ×3, first 2 shown]
.LBB0_31:
	s_endpgm
	.section	.rodata,"a",@progbits
	.p2align	6, 0x0
	.amdhsa_kernel bluestein_single_back_len1848_dim1_dp_op_CI_CI
		.amdhsa_group_segment_fixed_size 29568
		.amdhsa_private_segment_fixed_size 0
		.amdhsa_kernarg_size 104
		.amdhsa_user_sgpr_count 2
		.amdhsa_user_sgpr_dispatch_ptr 0
		.amdhsa_user_sgpr_queue_ptr 0
		.amdhsa_user_sgpr_kernarg_segment_ptr 1
		.amdhsa_user_sgpr_dispatch_id 0
		.amdhsa_user_sgpr_kernarg_preload_length 0
		.amdhsa_user_sgpr_kernarg_preload_offset 0
		.amdhsa_user_sgpr_private_segment_size 0
		.amdhsa_uses_dynamic_stack 0
		.amdhsa_enable_private_segment 0
		.amdhsa_system_sgpr_workgroup_id_x 1
		.amdhsa_system_sgpr_workgroup_id_y 0
		.amdhsa_system_sgpr_workgroup_id_z 0
		.amdhsa_system_sgpr_workgroup_info 0
		.amdhsa_system_vgpr_workitem_id 0
		.amdhsa_next_free_vgpr 368
		.amdhsa_next_free_sgpr 46
		.amdhsa_accum_offset 256
		.amdhsa_reserve_vcc 1
		.amdhsa_float_round_mode_32 0
		.amdhsa_float_round_mode_16_64 0
		.amdhsa_float_denorm_mode_32 3
		.amdhsa_float_denorm_mode_16_64 3
		.amdhsa_dx10_clamp 1
		.amdhsa_ieee_mode 1
		.amdhsa_fp16_overflow 0
		.amdhsa_tg_split 0
		.amdhsa_exception_fp_ieee_invalid_op 0
		.amdhsa_exception_fp_denorm_src 0
		.amdhsa_exception_fp_ieee_div_zero 0
		.amdhsa_exception_fp_ieee_overflow 0
		.amdhsa_exception_fp_ieee_underflow 0
		.amdhsa_exception_fp_ieee_inexact 0
		.amdhsa_exception_int_div_zero 0
	.end_amdhsa_kernel
	.text
.Lfunc_end0:
	.size	bluestein_single_back_len1848_dim1_dp_op_CI_CI, .Lfunc_end0-bluestein_single_back_len1848_dim1_dp_op_CI_CI
                                        ; -- End function
	.section	.AMDGPU.csdata,"",@progbits
; Kernel info:
; codeLenInByte = 19172
; NumSgprs: 52
; NumVgprs: 256
; NumAgprs: 112
; TotalNumVgprs: 368
; ScratchSize: 0
; MemoryBound: 0
; FloatMode: 240
; IeeeMode: 1
; LDSByteSize: 29568 bytes/workgroup (compile time only)
; SGPRBlocks: 6
; VGPRBlocks: 45
; NumSGPRsForWavesPerEU: 52
; NumVGPRsForWavesPerEU: 368
; AccumOffset: 256
; Occupancy: 1
; WaveLimiterHint : 1
; COMPUTE_PGM_RSRC2:SCRATCH_EN: 0
; COMPUTE_PGM_RSRC2:USER_SGPR: 2
; COMPUTE_PGM_RSRC2:TRAP_HANDLER: 0
; COMPUTE_PGM_RSRC2:TGID_X_EN: 1
; COMPUTE_PGM_RSRC2:TGID_Y_EN: 0
; COMPUTE_PGM_RSRC2:TGID_Z_EN: 0
; COMPUTE_PGM_RSRC2:TIDIG_COMP_CNT: 0
; COMPUTE_PGM_RSRC3_GFX90A:ACCUM_OFFSET: 63
; COMPUTE_PGM_RSRC3_GFX90A:TG_SPLIT: 0
	.text
	.p2alignl 6, 3212836864
	.fill 256, 4, 3212836864
	.type	__hip_cuid_ad3f51e12c3e83b9,@object ; @__hip_cuid_ad3f51e12c3e83b9
	.section	.bss,"aw",@nobits
	.globl	__hip_cuid_ad3f51e12c3e83b9
__hip_cuid_ad3f51e12c3e83b9:
	.byte	0                               ; 0x0
	.size	__hip_cuid_ad3f51e12c3e83b9, 1

	.ident	"AMD clang version 19.0.0git (https://github.com/RadeonOpenCompute/llvm-project roc-6.4.0 25133 c7fe45cf4b819c5991fe208aaa96edf142730f1d)"
	.section	".note.GNU-stack","",@progbits
	.addrsig
	.addrsig_sym __hip_cuid_ad3f51e12c3e83b9
	.amdgpu_metadata
---
amdhsa.kernels:
  - .agpr_count:     112
    .args:
      - .actual_access:  read_only
        .address_space:  global
        .offset:         0
        .size:           8
        .value_kind:     global_buffer
      - .actual_access:  read_only
        .address_space:  global
        .offset:         8
        .size:           8
        .value_kind:     global_buffer
      - .actual_access:  read_only
        .address_space:  global
        .offset:         16
        .size:           8
        .value_kind:     global_buffer
      - .actual_access:  read_only
        .address_space:  global
        .offset:         24
        .size:           8
        .value_kind:     global_buffer
      - .actual_access:  read_only
        .address_space:  global
        .offset:         32
        .size:           8
        .value_kind:     global_buffer
      - .offset:         40
        .size:           8
        .value_kind:     by_value
      - .address_space:  global
        .offset:         48
        .size:           8
        .value_kind:     global_buffer
      - .address_space:  global
        .offset:         56
        .size:           8
        .value_kind:     global_buffer
      - .address_space:  global
        .offset:         64
        .size:           8
        .value_kind:     global_buffer
      - .address_space:  global
        .offset:         72
        .size:           8
        .value_kind:     global_buffer
      - .offset:         80
        .size:           4
        .value_kind:     by_value
      - .address_space:  global
        .offset:         88
        .size:           8
        .value_kind:     global_buffer
      - .address_space:  global
        .offset:         96
        .size:           8
        .value_kind:     global_buffer
    .group_segment_fixed_size: 29568
    .kernarg_segment_align: 8
    .kernarg_segment_size: 104
    .language:       OpenCL C
    .language_version:
      - 2
      - 0
    .max_flat_workgroup_size: 231
    .name:           bluestein_single_back_len1848_dim1_dp_op_CI_CI
    .private_segment_fixed_size: 0
    .sgpr_count:     52
    .sgpr_spill_count: 0
    .symbol:         bluestein_single_back_len1848_dim1_dp_op_CI_CI.kd
    .uniform_work_group_size: 1
    .uses_dynamic_stack: false
    .vgpr_count:     368
    .vgpr_spill_count: 0
    .wavefront_size: 64
amdhsa.target:   amdgcn-amd-amdhsa--gfx950
amdhsa.version:
  - 1
  - 2
...

	.end_amdgpu_metadata
